;; amdgpu-corpus repo=ROCm/rocFFT kind=compiled arch=gfx906 opt=O3
	.text
	.amdgcn_target "amdgcn-amd-amdhsa--gfx906"
	.amdhsa_code_object_version 6
	.protected	fft_rtc_fwd_len1088_factors_17_4_4_2_2_wgs_204_tpt_68_halfLds_half_ip_CI_unitstride_sbrr_R2C_dirReg ; -- Begin function fft_rtc_fwd_len1088_factors_17_4_4_2_2_wgs_204_tpt_68_halfLds_half_ip_CI_unitstride_sbrr_R2C_dirReg
	.globl	fft_rtc_fwd_len1088_factors_17_4_4_2_2_wgs_204_tpt_68_halfLds_half_ip_CI_unitstride_sbrr_R2C_dirReg
	.p2align	8
	.type	fft_rtc_fwd_len1088_factors_17_4_4_2_2_wgs_204_tpt_68_halfLds_half_ip_CI_unitstride_sbrr_R2C_dirReg,@function
fft_rtc_fwd_len1088_factors_17_4_4_2_2_wgs_204_tpt_68_halfLds_half_ip_CI_unitstride_sbrr_R2C_dirReg: ; @fft_rtc_fwd_len1088_factors_17_4_4_2_2_wgs_204_tpt_68_halfLds_half_ip_CI_unitstride_sbrr_R2C_dirReg
; %bb.0:
	s_load_dwordx2 s[2:3], s[4:5], 0x50
	s_load_dwordx4 s[8:11], s[4:5], 0x0
	s_load_dwordx2 s[12:13], s[4:5], 0x18
	v_mul_u32_u24_e32 v1, 0x3c4, v0
	v_lshrrev_b32_e32 v1, 16, v1
	v_mad_u64_u32 v[1:2], s[0:1], s6, 3, v[1:2]
	v_mov_b32_e32 v5, 0
	s_waitcnt lgkmcnt(0)
	v_cmp_lt_u64_e64 s[0:1], s[10:11], 2
	v_mov_b32_e32 v2, v5
	v_mov_b32_e32 v3, 0
	;; [unrolled: 1-line block ×3, first 2 shown]
	s_and_b64 vcc, exec, s[0:1]
	v_mov_b32_e32 v4, 0
	v_mov_b32_e32 v9, v1
	s_cbranch_vccnz .LBB0_8
; %bb.1:
	s_load_dwordx2 s[0:1], s[4:5], 0x10
	s_add_u32 s6, s12, 8
	s_addc_u32 s7, s13, 0
	v_mov_b32_e32 v3, 0
	v_mov_b32_e32 v8, v2
	s_waitcnt lgkmcnt(0)
	s_add_u32 s16, s0, 8
	s_mov_b64 s[14:15], 1
	v_mov_b32_e32 v4, 0
	s_addc_u32 s17, s1, 0
	v_mov_b32_e32 v7, v1
.LBB0_2:                                ; =>This Inner Loop Header: Depth=1
	s_load_dwordx2 s[18:19], s[16:17], 0x0
                                        ; implicit-def: $vgpr9_vgpr10
	s_waitcnt lgkmcnt(0)
	v_or_b32_e32 v6, s19, v8
	v_cmp_ne_u64_e32 vcc, 0, v[5:6]
	s_and_saveexec_b64 s[0:1], vcc
	s_xor_b64 s[20:21], exec, s[0:1]
	s_cbranch_execz .LBB0_4
; %bb.3:                                ;   in Loop: Header=BB0_2 Depth=1
	v_cvt_f32_u32_e32 v2, s18
	v_cvt_f32_u32_e32 v6, s19
	s_sub_u32 s0, 0, s18
	s_subb_u32 s1, 0, s19
	v_mac_f32_e32 v2, 0x4f800000, v6
	v_rcp_f32_e32 v2, v2
	v_mul_f32_e32 v2, 0x5f7ffffc, v2
	v_mul_f32_e32 v6, 0x2f800000, v2
	v_trunc_f32_e32 v6, v6
	v_mac_f32_e32 v2, 0xcf800000, v6
	v_cvt_u32_f32_e32 v6, v6
	v_cvt_u32_f32_e32 v2, v2
	v_mul_lo_u32 v9, s0, v6
	v_mul_hi_u32 v10, s0, v2
	v_mul_lo_u32 v12, s1, v2
	v_mul_lo_u32 v11, s0, v2
	v_add_u32_e32 v9, v10, v9
	v_add_u32_e32 v9, v9, v12
	v_mul_hi_u32 v10, v2, v11
	v_mul_lo_u32 v12, v2, v9
	v_mul_hi_u32 v14, v2, v9
	v_mul_hi_u32 v13, v6, v11
	v_mul_lo_u32 v11, v6, v11
	v_mul_hi_u32 v15, v6, v9
	v_add_co_u32_e32 v10, vcc, v10, v12
	v_addc_co_u32_e32 v12, vcc, 0, v14, vcc
	v_mul_lo_u32 v9, v6, v9
	v_add_co_u32_e32 v10, vcc, v10, v11
	v_addc_co_u32_e32 v10, vcc, v12, v13, vcc
	v_addc_co_u32_e32 v11, vcc, 0, v15, vcc
	v_add_co_u32_e32 v9, vcc, v10, v9
	v_addc_co_u32_e32 v10, vcc, 0, v11, vcc
	v_add_co_u32_e32 v2, vcc, v2, v9
	v_addc_co_u32_e32 v6, vcc, v6, v10, vcc
	v_mul_lo_u32 v9, s0, v6
	v_mul_hi_u32 v10, s0, v2
	v_mul_lo_u32 v11, s1, v2
	v_mul_lo_u32 v12, s0, v2
	v_add_u32_e32 v9, v10, v9
	v_add_u32_e32 v9, v9, v11
	v_mul_lo_u32 v13, v2, v9
	v_mul_hi_u32 v14, v2, v12
	v_mul_hi_u32 v15, v2, v9
	;; [unrolled: 1-line block ×3, first 2 shown]
	v_mul_lo_u32 v12, v6, v12
	v_mul_hi_u32 v10, v6, v9
	v_add_co_u32_e32 v13, vcc, v14, v13
	v_addc_co_u32_e32 v14, vcc, 0, v15, vcc
	v_mul_lo_u32 v9, v6, v9
	v_add_co_u32_e32 v12, vcc, v13, v12
	v_addc_co_u32_e32 v11, vcc, v14, v11, vcc
	v_addc_co_u32_e32 v10, vcc, 0, v10, vcc
	v_add_co_u32_e32 v9, vcc, v11, v9
	v_addc_co_u32_e32 v10, vcc, 0, v10, vcc
	v_add_co_u32_e32 v2, vcc, v2, v9
	v_addc_co_u32_e32 v6, vcc, v6, v10, vcc
	v_mad_u64_u32 v[9:10], s[0:1], v7, v6, 0
	v_mul_hi_u32 v11, v7, v2
	v_add_co_u32_e32 v13, vcc, v11, v9
	v_addc_co_u32_e32 v14, vcc, 0, v10, vcc
	v_mad_u64_u32 v[9:10], s[0:1], v8, v2, 0
	v_mad_u64_u32 v[11:12], s[0:1], v8, v6, 0
	v_add_co_u32_e32 v2, vcc, v13, v9
	v_addc_co_u32_e32 v2, vcc, v14, v10, vcc
	v_addc_co_u32_e32 v6, vcc, 0, v12, vcc
	v_add_co_u32_e32 v2, vcc, v2, v11
	v_addc_co_u32_e32 v6, vcc, 0, v6, vcc
	v_mul_lo_u32 v11, s19, v2
	v_mul_lo_u32 v12, s18, v6
	v_mad_u64_u32 v[9:10], s[0:1], s18, v2, 0
	v_add3_u32 v10, v10, v12, v11
	v_sub_u32_e32 v11, v8, v10
	v_mov_b32_e32 v12, s19
	v_sub_co_u32_e32 v9, vcc, v7, v9
	v_subb_co_u32_e64 v11, s[0:1], v11, v12, vcc
	v_subrev_co_u32_e64 v12, s[0:1], s18, v9
	v_subbrev_co_u32_e64 v11, s[0:1], 0, v11, s[0:1]
	v_cmp_le_u32_e64 s[0:1], s19, v11
	v_cndmask_b32_e64 v13, 0, -1, s[0:1]
	v_cmp_le_u32_e64 s[0:1], s18, v12
	v_cndmask_b32_e64 v12, 0, -1, s[0:1]
	v_cmp_eq_u32_e64 s[0:1], s19, v11
	v_cndmask_b32_e64 v11, v13, v12, s[0:1]
	v_add_co_u32_e64 v12, s[0:1], 2, v2
	v_addc_co_u32_e64 v13, s[0:1], 0, v6, s[0:1]
	v_add_co_u32_e64 v14, s[0:1], 1, v2
	v_addc_co_u32_e64 v15, s[0:1], 0, v6, s[0:1]
	v_subb_co_u32_e32 v10, vcc, v8, v10, vcc
	v_cmp_ne_u32_e64 s[0:1], 0, v11
	v_cmp_le_u32_e32 vcc, s19, v10
	v_cndmask_b32_e64 v11, v15, v13, s[0:1]
	v_cndmask_b32_e64 v13, 0, -1, vcc
	v_cmp_le_u32_e32 vcc, s18, v9
	v_cndmask_b32_e64 v9, 0, -1, vcc
	v_cmp_eq_u32_e32 vcc, s19, v10
	v_cndmask_b32_e32 v9, v13, v9, vcc
	v_cmp_ne_u32_e32 vcc, 0, v9
	v_cndmask_b32_e32 v10, v6, v11, vcc
	v_cndmask_b32_e64 v6, v14, v12, s[0:1]
	v_cndmask_b32_e32 v9, v2, v6, vcc
.LBB0_4:                                ;   in Loop: Header=BB0_2 Depth=1
	s_andn2_saveexec_b64 s[0:1], s[20:21]
	s_cbranch_execz .LBB0_6
; %bb.5:                                ;   in Loop: Header=BB0_2 Depth=1
	v_cvt_f32_u32_e32 v2, s18
	s_sub_i32 s20, 0, s18
	v_rcp_iflag_f32_e32 v2, v2
	v_mul_f32_e32 v2, 0x4f7ffffe, v2
	v_cvt_u32_f32_e32 v2, v2
	v_mul_lo_u32 v6, s20, v2
	v_mul_hi_u32 v6, v2, v6
	v_add_u32_e32 v2, v2, v6
	v_mul_hi_u32 v2, v7, v2
	v_mul_lo_u32 v6, v2, s18
	v_add_u32_e32 v9, 1, v2
	v_sub_u32_e32 v6, v7, v6
	v_subrev_u32_e32 v10, s18, v6
	v_cmp_le_u32_e32 vcc, s18, v6
	v_cndmask_b32_e32 v6, v6, v10, vcc
	v_cndmask_b32_e32 v2, v2, v9, vcc
	v_add_u32_e32 v9, 1, v2
	v_cmp_le_u32_e32 vcc, s18, v6
	v_cndmask_b32_e32 v9, v2, v9, vcc
	v_mov_b32_e32 v10, v5
.LBB0_6:                                ;   in Loop: Header=BB0_2 Depth=1
	s_or_b64 exec, exec, s[0:1]
	v_mul_lo_u32 v2, v10, s18
	v_mul_lo_u32 v6, v9, s19
	v_mad_u64_u32 v[11:12], s[0:1], v9, s18, 0
	s_load_dwordx2 s[0:1], s[6:7], 0x0
	s_add_u32 s14, s14, 1
	v_add3_u32 v2, v12, v6, v2
	v_sub_co_u32_e32 v6, vcc, v7, v11
	v_subb_co_u32_e32 v2, vcc, v8, v2, vcc
	s_waitcnt lgkmcnt(0)
	v_mul_lo_u32 v2, s0, v2
	v_mul_lo_u32 v7, s1, v6
	v_mad_u64_u32 v[3:4], s[0:1], s0, v6, v[3:4]
	s_addc_u32 s15, s15, 0
	s_add_u32 s6, s6, 8
	v_add3_u32 v4, v7, v4, v2
	v_mov_b32_e32 v6, s10
	v_mov_b32_e32 v7, s11
	s_addc_u32 s7, s7, 0
	v_cmp_ge_u64_e32 vcc, s[14:15], v[6:7]
	s_add_u32 s16, s16, 8
	s_addc_u32 s17, s17, 0
	s_cbranch_vccnz .LBB0_8
; %bb.7:                                ;   in Loop: Header=BB0_2 Depth=1
	v_mov_b32_e32 v7, v9
	v_mov_b32_e32 v8, v10
	s_branch .LBB0_2
.LBB0_8:
	s_lshl_b64 s[0:1], s[10:11], 3
	s_add_u32 s0, s12, s0
	s_addc_u32 s1, s13, s1
	s_load_dwordx2 s[0:1], s[0:1], 0x0
	s_mov_b32 s6, 0xaaaaaaab
	v_mul_hi_u32 v5, v1, s6
	s_waitcnt lgkmcnt(0)
	v_mul_lo_u32 v6, s0, v10
	v_mul_lo_u32 v7, s1, v9
	v_mad_u64_u32 v[2:3], s[0:1], s0, v9, v[3:4]
	s_load_dwordx2 s[0:1], s[4:5], 0x20
	s_mov_b32 s4, 0x3c3c3c4
	v_lshrrev_b32_e32 v4, 1, v5
	v_mul_hi_u32 v5, v0, s4
	v_lshl_add_u32 v4, v4, 1, v4
	v_add3_u32 v3, v7, v3, v6
	v_sub_u32_e32 v1, v1, v4
	v_mul_u32_u24_e32 v4, 0x44, v5
	v_mul_u32_u24_e32 v1, 0x441, v1
	s_waitcnt lgkmcnt(0)
	v_cmp_gt_u64_e32 vcc, s[0:1], v[9:10]
	v_sub_u32_e32 v0, v0, v4
	v_lshlrev_b64 v[2:3], 2, v[2:3]
	v_lshlrev_b32_e32 v24, 2, v1
	v_lshlrev_b32_e32 v21, 2, v0
	s_and_saveexec_b64 s[4:5], vcc
	s_cbranch_execz .LBB0_10
; %bb.9:
	v_mov_b32_e32 v1, 0
	v_mov_b32_e32 v4, s3
	v_add_co_u32_e64 v6, s[0:1], s2, v2
	v_addc_co_u32_e64 v7, s[0:1], v4, v3, s[0:1]
	v_lshlrev_b64 v[4:5], 2, v[0:1]
	v_add_co_u32_e64 v4, s[0:1], v6, v4
	v_addc_co_u32_e64 v5, s[0:1], v7, v5, s[0:1]
	global_load_dword v1, v[4:5], off
	global_load_dword v6, v[4:5], off offset:272
	global_load_dword v7, v[4:5], off offset:544
	;; [unrolled: 1-line block ×14, first 2 shown]
	s_nop 0
	global_load_dword v4, v[4:5], off offset:4080
	v_add3_u32 v5, 0, v24, v21
	v_add_u32_e32 v20, 0x400, v5
	v_add_u32_e32 v22, 0x800, v5
	;; [unrolled: 1-line block ×3, first 2 shown]
	s_waitcnt vmcnt(14)
	ds_write2_b32 v5, v1, v6 offset1:68
	s_waitcnt vmcnt(12)
	ds_write2_b32 v5, v7, v8 offset0:136 offset1:204
	s_waitcnt vmcnt(10)
	ds_write2_b32 v20, v9, v10 offset0:16 offset1:84
	;; [unrolled: 2-line block ×7, first 2 shown]
.LBB0_10:
	s_or_b64 exec, exec, s[4:5]
	v_add_u32_e32 v22, 0, v24
	v_add_u32_e32 v20, v22, v21
	;; [unrolled: 1-line block ×3, first 2 shown]
	s_waitcnt lgkmcnt(0)
	s_barrier
	v_add_u32_e32 v23, v1, v24
	ds_read_b32 v1, v20
	ds_read2st64_b32 v[16:17], v23 offset0:1 offset1:2
	ds_read2st64_b32 v[12:13], v23 offset0:3 offset1:4
	;; [unrolled: 1-line block ×8, first 2 shown]
	v_cmp_gt_u32_e64 s[0:1], 64, v0
	s_waitcnt lgkmcnt(0)
	s_barrier
	s_and_saveexec_b64 s[4:5], s[0:1]
	s_cbranch_execz .LBB0_12
; %bb.11:
	v_pk_add_f16 v25, v1, v16
	v_pk_add_f16 v25, v25, v17
	;; [unrolled: 1-line block ×17, first 2 shown]
	s_movk_i32 s0, 0x39e9
	v_pk_add_f16 v19, v16, v19 neg_lo:[0,1] neg_hi:[0,1]
	v_pk_add_f16 v16, v18, v17
	v_pk_add_f16 v18, v17, v18 neg_lo:[0,1] neg_hi:[0,1]
	v_pk_add_f16 v17, v15, v12
	;; [unrolled: 2-line block ×7, first 2 shown]
	v_pk_add_f16 v5, v5, v6 neg_lo:[0,1] neg_hi:[0,1]
	v_mul_f16_sdwa v6, v25, s0 dst_sel:DWORD dst_unused:UNUSED_PAD src0_sel:WORD_1 src1_sel:DWORD
	s_movk_i32 s1, 0x2de8
	s_mov_b32 s6, 0xb964
	v_mul_f16_sdwa v27, v16, s1 dst_sel:DWORD dst_unused:UNUSED_PAD src0_sel:WORD_1 src1_sel:DWORD
	s_mov_b32 s7, 0xbbf7
	v_fma_f16 v28, v19, s6, v6
	s_mov_b32 s10, 0xb8d2
	v_add_f16_sdwa v28, v1, v28 dst_sel:DWORD dst_unused:UNUSED_PAD src0_sel:WORD_1 src1_sel:DWORD
	v_fma_f16 v29, v18, s7, v27
	s_mov_b32 s17, 0xba62
	v_mul_f16_sdwa v47, v17, s10 dst_sel:DWORD dst_unused:UNUSED_PAD src0_sel:WORD_1 src1_sel:DWORD
	s_mov_b32 s11, 0xbbdd
	v_add_f16_e32 v28, v29, v28
	v_fma_f16 v29, v15, s17, v47
	s_mov_b32 s24, 0xb1e1
	v_mul_f16_sdwa v48, v12, s11 dst_sel:DWORD dst_unused:UNUSED_PAD src0_sel:WORD_1 src1_sel:DWORD
	s_mov_b32 s12, 0xbacd
	v_add_f16_e32 v28, v29, v28
	v_fma_f16 v29, v14, s24, v48
	s_movk_i32 s19, 0x3836
	v_mul_f16_sdwa v49, v13, s12 dst_sel:DWORD dst_unused:UNUSED_PAD src0_sel:WORD_1 src1_sel:DWORD
	s_mov_b32 s13, 0xb461
	v_add_f16_e32 v28, v29, v28
	v_fma_f16 v29, v11, s19, v49
	s_movk_i32 s18, 0x3bb2
	v_mul_f16_sdwa v50, v8, s13 dst_sel:DWORD dst_unused:UNUSED_PAD src0_sel:WORD_1 src1_sel:DWORD
	s_movk_i32 s15, 0x3722
	v_add_f16_e32 v28, v29, v28
	v_fma_f16 v29, v10, s18, v50
	s_movk_i32 s22, 0x3b29
	v_mul_f16_sdwa v51, v9, s15 dst_sel:DWORD dst_unused:UNUSED_PAD src0_sel:WORD_1 src1_sel:DWORD
	s_movk_i32 s16, 0x3b76
	v_add_f16_e32 v28, v29, v28
	v_fma_f16 v29, v7, s22, v51
	s_movk_i32 s20, 0x35c8
	v_mul_f16_sdwa v52, v4, s16 dst_sel:DWORD dst_unused:UNUSED_PAD src0_sel:WORD_1 src1_sel:DWORD
	v_add_f16_e32 v28, v29, v28
	v_fma_f16 v29, v5, s20, v52
	s_mov_b32 s21, 0x3b7639e9
	v_add_f16_e32 v46, v29, v28
	s_mov_b32 s14, 0xb964b5c8
	s_mov_b32 s25, 0x39e92de8
	v_pk_mul_f16 v28, v25, s21
	s_mov_b32 s23, 0xbbf7b964
	v_pk_fma_f16 v53, v19, s14, v28 op_sel:[0,0,1] op_sel_hi:[1,1,0]
	v_pk_fma_f16 v28, v19, s14, v28 op_sel:[0,0,1] op_sel_hi:[1,1,0] neg_lo:[1,0,0] neg_hi:[1,0,0]
	s_mov_b32 s14, 0xffff
	v_pk_mul_f16 v30, v16, s25
	v_bfi_b32 v29, s14, v53, v28
	v_pk_fma_f16 v54, v18, s23, v30 op_sel:[0,0,1] op_sel_hi:[1,1,0]
	v_pk_fma_f16 v30, v18, s23, v30 op_sel:[0,0,1] op_sel_hi:[1,1,0] neg_lo:[1,0,0] neg_hi:[1,0,0]
	v_pk_add_f16 v29, v1, v29 op_sel:[1,0] op_sel_hi:[0,1]
	v_bfi_b32 v31, s14, v54, v30
	s_mov_b32 s23, 0x3722b8d2
	v_pk_add_f16 v29, v31, v29
	s_mov_b32 s21, 0xba62bb29
	v_pk_mul_f16 v31, v17, s23
	v_pk_fma_f16 v55, v15, s21, v31 op_sel:[0,0,1] op_sel_hi:[1,1,0]
	v_pk_fma_f16 v31, v15, s21, v31 op_sel:[0,0,1] op_sel_hi:[1,1,0] neg_lo:[1,0,0] neg_hi:[1,0,0]
	v_bfi_b32 v32, s14, v55, v31
	s_mov_b32 s23, 0x2de8bbdd
	v_pk_add_f16 v29, v32, v29
	s_mov_b32 s21, 0xb1e1bbf7
	v_pk_mul_f16 v32, v12, s23
	v_pk_fma_f16 v56, v14, s21, v32 op_sel:[0,0,1] op_sel_hi:[1,1,0]
	v_pk_fma_f16 v33, v14, s21, v32 op_sel:[0,0,1] op_sel_hi:[1,1,0] neg_lo:[1,0,0] neg_hi:[1,0,0]
	;; [unrolled: 7-line block ×4, first 2 shown]
	s_mov_b32 s23, 0xbacd3722
	v_bfi_b32 v32, s14, v58, v35
	s_mov_b32 s21, 0x3b29b836
	v_pk_mul_f16 v36, v9, s23
	v_pk_add_f16 v32, v32, v29
	v_pk_fma_f16 v29, v7, s21, v36 op_sel:[0,0,1] op_sel_hi:[1,1,0]
	v_pk_fma_f16 v36, v7, s21, v36 op_sel:[0,0,1] op_sel_hi:[1,1,0] neg_lo:[1,0,0] neg_hi:[1,0,0]
	v_bfi_b32 v37, s14, v29, v36
	s_mov_b32 s23, 0xbbdd3b76
	v_pk_add_f16 v38, v37, v32
	s_mov_b32 s21, 0x35c8b1e1
	v_pk_mul_f16 v32, v4, s23
	v_pk_fma_f16 v39, v5, s21, v32 op_sel:[0,0,1] op_sel_hi:[1,1,0]
	v_pk_fma_f16 v37, v5, s21, v32 op_sel:[0,0,1] op_sel_hi:[1,1,0] neg_lo:[1,0,0] neg_hi:[1,0,0]
	v_bfi_b32 v39, s14, v39, v37
	s_mov_b32 s27, 0xb5c8
	v_pk_add_f16 v59, v39, v38
	v_mul_f16_sdwa v38, v19, s27 dst_sel:DWORD dst_unused:UNUSED_PAD src0_sel:WORD_1 src1_sel:DWORD
	v_fma_f16 v39, v25, s16, -v38
	v_add_f16_e32 v40, v1, v39
	v_mul_f16_sdwa v39, v18, s6 dst_sel:DWORD dst_unused:UNUSED_PAD src0_sel:WORD_1 src1_sel:DWORD
	v_fma_f16 v41, v16, s0, -v39
	s_mov_b32 s23, 0xbb29
	v_add_f16_e32 v41, v41, v40
	v_mul_f16_sdwa v40, v15, s23 dst_sel:DWORD dst_unused:UNUSED_PAD src0_sel:WORD_1 src1_sel:DWORD
	v_fma_f16 v42, v17, s15, -v40
	v_add_f16_e32 v42, v42, v41
	v_mul_f16_sdwa v41, v14, s7 dst_sel:DWORD dst_unused:UNUSED_PAD src0_sel:WORD_1 src1_sel:DWORD
	v_fma_f16 v43, v12, s1, -v41
	s_mov_b32 s25, 0xbbb2
	v_add_f16_e32 v43, v43, v42
	;; [unrolled: 7-line block ×3, first 2 shown]
	v_mul_f16_sdwa v44, v7, s26 dst_sel:DWORD dst_unused:UNUSED_PAD src0_sel:WORD_1 src1_sel:DWORD
	v_fma_f16 v60, v9, s12, -v44
	v_add_f16_e32 v60, v60, v45
	v_mul_f16_sdwa v45, v5, s24 dst_sel:DWORD dst_unused:UNUSED_PAD src0_sel:WORD_1 src1_sel:DWORD
	v_fma_f16 v61, v4, s11, -v45
	v_add_f16_e32 v60, v61, v60
	v_alignbit_b32 v61, v46, v59, 16
	v_mul_u32_u24_e32 v46, 0x44, v0
	v_pack_b32_f16 v59, v60, v59
	v_add3_u32 v46, 0, v46, v24
	ds_write2_b32 v46, v59, v61 offset0:1 offset1:2
	v_mul_f16_sdwa v59, v25, s1 dst_sel:DWORD dst_unused:UNUSED_PAD src0_sel:WORD_1 src1_sel:DWORD
	v_fma_f16 v60, v19, s7, v59
	v_mul_f16_sdwa v61, v16, s11 dst_sel:DWORD dst_unused:UNUSED_PAD src0_sel:WORD_1 src1_sel:DWORD
	v_add_f16_sdwa v60, v1, v60 dst_sel:DWORD dst_unused:UNUSED_PAD src0_sel:WORD_1 src1_sel:DWORD
	v_fma_f16 v62, v18, s24, v61
	v_add_f16_e32 v60, v62, v60
	v_mul_f16_sdwa v62, v17, s13 dst_sel:DWORD dst_unused:UNUSED_PAD src0_sel:WORD_1 src1_sel:DWORD
	v_fma_f16 v63, v15, s18, v62
	v_add_f16_e32 v60, v63, v60
	v_mul_f16_sdwa v63, v12, s16 dst_sel:DWORD dst_unused:UNUSED_PAD src0_sel:WORD_1 src1_sel:DWORD
	;; [unrolled: 3-line block ×4, first 2 shown]
	v_fma_f16 v66, v10, s26, v65
	v_add_f16_e32 v60, v66, v60
	s_movk_i32 s30, 0x3a62
	v_mul_f16_sdwa v66, v9, s10 dst_sel:DWORD dst_unused:UNUSED_PAD src0_sel:WORD_1 src1_sel:DWORD
	v_fma_f16 v67, v7, s30, v66
	v_add_f16_e32 v60, v67, v60
	s_movk_i32 s28, 0x3964
	v_mul_f16_sdwa v67, v4, s0 dst_sel:DWORD dst_unused:UNUSED_PAD src0_sel:WORD_1 src1_sel:DWORD
	v_fma_f16 v68, v5, s28, v67
	v_add_f16_e32 v60, v68, v60
	v_mul_f16_sdwa v68, v19, s7 dst_sel:DWORD dst_unused:UNUSED_PAD src0_sel:WORD_1 src1_sel:DWORD
	v_fma_f16 v69, v25, s1, -v68
	v_mul_f16_sdwa v70, v18, s24 dst_sel:DWORD dst_unused:UNUSED_PAD src0_sel:WORD_1 src1_sel:DWORD
	v_add_f16_e32 v69, v1, v69
	v_fma_f16 v71, v16, s11, -v70
	v_add_f16_e32 v69, v71, v69
	v_mul_f16_sdwa v71, v15, s18 dst_sel:DWORD dst_unused:UNUSED_PAD src0_sel:WORD_1 src1_sel:DWORD
	v_fma_f16 v72, v17, s13, -v71
	v_add_f16_e32 v69, v72, v69
	v_mul_f16_sdwa v72, v14, s20 dst_sel:DWORD dst_unused:UNUSED_PAD src0_sel:WORD_1 src1_sel:DWORD
	;; [unrolled: 3-line block ×7, first 2 shown]
	v_fma_f16 v78, v19, s23, v77
	v_mul_f16_sdwa v79, v16, s10 dst_sel:DWORD dst_unused:UNUSED_PAD src0_sel:WORD_1 src1_sel:DWORD
	v_add_f16_sdwa v78, v1, v78 dst_sel:DWORD dst_unused:UNUSED_PAD src0_sel:WORD_1 src1_sel:DWORD
	v_fma_f16 v80, v18, s17, v79
	v_add_f16_e32 v78, v80, v78
	s_movk_i32 s29, 0x31e1
	v_mul_f16_sdwa v80, v17, s11 dst_sel:DWORD dst_unused:UNUSED_PAD src0_sel:WORD_1 src1_sel:DWORD
	v_fma_f16 v81, v15, s29, v80
	v_add_f16_e32 v78, v81, v78
	v_mul_f16_sdwa v81, v12, s13 dst_sel:DWORD dst_unused:UNUSED_PAD src0_sel:WORD_1 src1_sel:DWORD
	v_fma_f16 v82, v14, s18, v81
	v_add_f16_e32 v78, v82, v78
	;; [unrolled: 3-line block ×6, first 2 shown]
	v_mul_f16_sdwa v86, v19, s23 dst_sel:DWORD dst_unused:UNUSED_PAD src0_sel:WORD_1 src1_sel:DWORD
	v_fma_f16 v87, v25, s15, -v86
	v_mul_f16_sdwa v88, v18, s17 dst_sel:DWORD dst_unused:UNUSED_PAD src0_sel:WORD_1 src1_sel:DWORD
	v_add_f16_e32 v87, v1, v87
	v_fma_f16 v89, v16, s10, -v88
	v_add_f16_e32 v87, v89, v87
	v_mul_f16_sdwa v89, v15, s29 dst_sel:DWORD dst_unused:UNUSED_PAD src0_sel:WORD_1 src1_sel:DWORD
	v_fma_f16 v90, v17, s11, -v89
	v_add_f16_e32 v87, v90, v87
	v_mul_f16_sdwa v90, v14, s18 dst_sel:DWORD dst_unused:UNUSED_PAD src0_sel:WORD_1 src1_sel:DWORD
	;; [unrolled: 3-line block ×6, first 2 shown]
	v_fma_f16 v95, v4, s12, -v94
	v_add_f16_e32 v87, v95, v87
	v_pack_b32_f16 v60, v69, v60
	v_pack_b32_f16 v69, v87, v78
	ds_write2_b32 v46, v69, v60 offset0:3 offset1:4
	v_mul_f16_sdwa v60, v25, s10 dst_sel:DWORD dst_unused:UNUSED_PAD src0_sel:WORD_1 src1_sel:DWORD
	v_fma_f16 v69, v19, s17, v60
	v_mul_f16_sdwa v78, v16, s13 dst_sel:DWORD dst_unused:UNUSED_PAD src0_sel:WORD_1 src1_sel:DWORD
	v_add_f16_sdwa v69, v1, v69 dst_sel:DWORD dst_unused:UNUSED_PAD src0_sel:WORD_1 src1_sel:DWORD
	v_fma_f16 v87, v18, s18, v78
	v_add_f16_e32 v69, v87, v69
	v_mul_f16_sdwa v87, v17, s16 dst_sel:DWORD dst_unused:UNUSED_PAD src0_sel:WORD_1 src1_sel:DWORD
	v_fma_f16 v95, v15, s27, v87
	v_add_f16_e32 v69, v95, v69
	v_mul_f16_sdwa v95, v12, s12 dst_sel:DWORD dst_unused:UNUSED_PAD src0_sel:WORD_1 src1_sel:DWORD
	v_fma_f16 v96, v14, s26, v95
	v_add_f16_e32 v69, v96, v69
	s_movk_i32 s31, 0x3bf7
	v_mul_f16_sdwa v96, v13, s1 dst_sel:DWORD dst_unused:UNUSED_PAD src0_sel:WORD_1 src1_sel:DWORD
	v_fma_f16 v97, v11, s31, v96
	v_add_f16_e32 v69, v97, v69
	v_mul_f16_sdwa v97, v8, s0 dst_sel:DWORD dst_unused:UNUSED_PAD src0_sel:WORD_1 src1_sel:DWORD
	v_fma_f16 v98, v10, s6, v97
	v_add_f16_e32 v69, v98, v69
	;; [unrolled: 3-line block ×4, first 2 shown]
	v_mul_f16_sdwa v100, v19, s17 dst_sel:DWORD dst_unused:UNUSED_PAD src0_sel:WORD_1 src1_sel:DWORD
	v_fma_f16 v101, v25, s10, -v100
	v_mul_f16_sdwa v102, v18, s18 dst_sel:DWORD dst_unused:UNUSED_PAD src0_sel:WORD_1 src1_sel:DWORD
	v_add_f16_e32 v101, v1, v101
	v_fma_f16 v103, v16, s13, -v102
	v_add_f16_e32 v101, v103, v101
	v_mul_f16_sdwa v103, v15, s27 dst_sel:DWORD dst_unused:UNUSED_PAD src0_sel:WORD_1 src1_sel:DWORD
	v_fma_f16 v104, v17, s16, -v103
	v_add_f16_e32 v101, v104, v101
	v_mul_f16_sdwa v104, v14, s26 dst_sel:DWORD dst_unused:UNUSED_PAD src0_sel:WORD_1 src1_sel:DWORD
	;; [unrolled: 3-line block ×7, first 2 shown]
	v_fma_f16 v110, v19, s25, v109
	v_mul_f16_sdwa v111, v16, s12 dst_sel:DWORD dst_unused:UNUSED_PAD src0_sel:WORD_1 src1_sel:DWORD
	v_add_f16_sdwa v110, v1, v110 dst_sel:DWORD dst_unused:UNUSED_PAD src0_sel:WORD_1 src1_sel:DWORD
	v_fma_f16 v112, v18, s19, v111
	v_add_f16_e32 v110, v112, v110
	v_mul_f16_sdwa v112, v17, s0 dst_sel:DWORD dst_unused:UNUSED_PAD src0_sel:WORD_1 src1_sel:DWORD
	v_fma_f16 v113, v15, s28, v112
	v_add_f16_e32 v110, v113, v110
	v_mul_f16_sdwa v113, v12, s15 dst_sel:DWORD dst_unused:UNUSED_PAD src0_sel:WORD_1 src1_sel:DWORD
	;; [unrolled: 3-line block ×7, first 2 shown]
	v_fma_f16 v119, v25, s13, -v118
	v_mul_f16_sdwa v120, v18, s19 dst_sel:DWORD dst_unused:UNUSED_PAD src0_sel:WORD_1 src1_sel:DWORD
	v_add_f16_e32 v119, v1, v119
	v_fma_f16 v121, v16, s12, -v120
	v_add_f16_e32 v119, v121, v119
	v_mul_f16_sdwa v121, v15, s28 dst_sel:DWORD dst_unused:UNUSED_PAD src0_sel:WORD_1 src1_sel:DWORD
	v_fma_f16 v122, v17, s0, -v121
	v_add_f16_e32 v119, v122, v119
	v_mul_f16_sdwa v122, v14, s23 dst_sel:DWORD dst_unused:UNUSED_PAD src0_sel:WORD_1 src1_sel:DWORD
	;; [unrolled: 3-line block ×6, first 2 shown]
	v_fma_f16 v127, v4, s10, -v126
	v_add_f16_e32 v119, v127, v119
	v_pack_b32_f16 v69, v101, v69
	v_pack_b32_f16 v101, v119, v110
	ds_write2_b32 v46, v101, v69 offset0:5 offset1:6
	v_mul_f16_sdwa v69, v25, s12 dst_sel:DWORD dst_unused:UNUSED_PAD src0_sel:WORD_1 src1_sel:DWORD
	v_fma_f16 v101, v19, s26, v69
	v_mul_f16_sdwa v110, v16, s15 dst_sel:DWORD dst_unused:UNUSED_PAD src0_sel:WORD_1 src1_sel:DWORD
	v_add_f16_sdwa v101, v1, v101 dst_sel:DWORD dst_unused:UNUSED_PAD src0_sel:WORD_1 src1_sel:DWORD
	v_fma_f16 v119, v18, s22, v110
	v_add_f16_e32 v101, v119, v101
	v_mul_f16_sdwa v119, v17, s1 dst_sel:DWORD dst_unused:UNUSED_PAD src0_sel:WORD_1 src1_sel:DWORD
	v_fma_f16 v127, v15, s7, v119
	v_add_f16_e32 v101, v127, v101
	v_mul_f16_sdwa v127, v12, s10 dst_sel:DWORD dst_unused:UNUSED_PAD src0_sel:WORD_1 src1_sel:DWORD
	;; [unrolled: 3-line block ×7, first 2 shown]
	v_fma_f16 v133, v25, s12, -v132
	v_mul_f16_sdwa v134, v18, s22 dst_sel:DWORD dst_unused:UNUSED_PAD src0_sel:WORD_1 src1_sel:DWORD
	v_add_f16_e32 v133, v1, v133
	v_fma_f16 v135, v16, s15, -v134
	v_add_f16_e32 v133, v135, v133
	v_mul_f16_sdwa v135, v15, s7 dst_sel:DWORD dst_unused:UNUSED_PAD src0_sel:WORD_1 src1_sel:DWORD
	v_fma_f16 v136, v17, s1, -v135
	v_add_f16_e32 v133, v136, v133
	v_mul_f16_sdwa v136, v14, s30 dst_sel:DWORD dst_unused:UNUSED_PAD src0_sel:WORD_1 src1_sel:DWORD
	;; [unrolled: 3-line block ×6, first 2 shown]
	v_fma_f16 v141, v4, s13, -v140
	v_add_f16_e32 v133, v141, v133
	v_pack_b32_f16 v101, v133, v101
	ds_write2_b32 v46, v26, v101 offset1:7
	v_pk_mul_f16 v26, v25, s11 op_sel_hi:[1,0]
	v_pk_fma_f16 v101, v19, s24, v26 op_sel:[0,0,1] op_sel_hi:[1,0,0] neg_lo:[1,0,0] neg_hi:[1,0,0]
	v_pk_mul_f16 v133, v16, s16 op_sel_hi:[1,0]
	v_pk_add_f16 v101, v1, v101 op_sel:[1,0] op_sel_hi:[0,1]
	v_pk_fma_f16 v141, v18, s20, v133 op_sel:[0,0,1] op_sel_hi:[1,0,0] neg_lo:[1,0,0] neg_hi:[1,0,0]
	v_pk_add_f16 v101, v141, v101
	v_pk_mul_f16 v141, v17, s12 op_sel_hi:[1,0]
	v_pk_fma_f16 v142, v15, s26, v141 op_sel:[0,0,1] op_sel_hi:[1,0,0] neg_lo:[1,0,0] neg_hi:[1,0,0]
	v_pk_add_f16 v101, v142, v101
	v_pk_mul_f16 v142, v12, s0 op_sel_hi:[1,0]
	;; [unrolled: 3-line block ×3, first 2 shown]
	v_pk_fma_f16 v26, v19, s24, v26 op_sel:[0,0,1] op_sel_hi:[1,0,0]
	v_pk_fma_f16 v144, v11, s17, v143 op_sel:[0,0,1] op_sel_hi:[1,0,0] neg_lo:[1,0,0] neg_hi:[1,0,0]
	v_pk_add_f16 v26, v1, v26 op_sel:[1,0] op_sel_hi:[0,1]
	v_pk_fma_f16 v133, v18, s20, v133 op_sel:[0,0,1] op_sel_hi:[1,0,0]
	v_pk_add_f16 v101, v144, v101
	v_pk_mul_f16 v144, v8, s15 op_sel_hi:[1,0]
	v_pk_add_f16 v26, v133, v26
	v_pk_fma_f16 v133, v15, s26, v141 op_sel:[0,0,1] op_sel_hi:[1,0,0]
	v_pk_fma_f16 v145, v10, s22, v144 op_sel:[0,0,1] op_sel_hi:[1,0,0] neg_lo:[1,0,0] neg_hi:[1,0,0]
	v_pk_add_f16 v26, v133, v26
	v_pk_fma_f16 v133, v14, s28, v142 op_sel:[0,0,1] op_sel_hi:[1,0,0]
	v_pk_add_f16 v101, v145, v101
	v_pk_mul_f16 v145, v9, s13 op_sel_hi:[1,0]
	v_pk_add_f16 v26, v133, v26
	v_pk_fma_f16 v133, v11, s17, v143 op_sel:[0,0,1] op_sel_hi:[1,0,0]
	v_pk_fma_f16 v146, v7, s25, v145 op_sel:[0,0,1] op_sel_hi:[1,0,0] neg_lo:[1,0,0] neg_hi:[1,0,0]
	v_pk_add_f16 v26, v133, v26
	;; [unrolled: 7-line block ×3, first 2 shown]
	v_pk_fma_f16 v133, v5, s31, v146 op_sel:[0,0,1] op_sel_hi:[1,0,0]
	v_pk_add_f16 v101, v147, v101
	v_pk_add_f16 v26, v133, v26
	v_alignbit_b32 v133, v101, v26, 16
	v_alignbit_b32 v26, v26, v101, 16
	v_fma_f16 v6, v19, s28, v6
	ds_write2_b32 v46, v26, v133 offset0:8 offset1:9
	v_add_f16_sdwa v6, v1, v6 dst_sel:DWORD dst_unused:UNUSED_PAD src0_sel:WORD_1 src1_sel:DWORD
	v_fma_f16 v26, v18, s31, v27
	v_fma_f16 v27, v19, s22, v77
	v_add_f16_e32 v6, v26, v6
	v_fma_f16 v26, v15, s30, v47
	v_add_f16_sdwa v27, v1, v27 dst_sel:DWORD dst_unused:UNUSED_PAD src0_sel:WORD_1 src1_sel:DWORD
	v_fma_f16 v47, v18, s30, v79
	v_add_f16_e32 v27, v47, v27
	v_fma_f16 v47, v15, s24, v80
	v_add_f16_e32 v27, v47, v27
	;; [unrolled: 2-line block ×15, first 2 shown]
	v_fma_f16 v26, v11, s26, v49
	v_add_f16_sdwa v48, v1, v48 dst_sel:DWORD dst_unused:UNUSED_PAD src0_sel:WORD_1 src1_sel:DWORD
	v_fma_f16 v49, v18, s29, v61
	v_add_f16_e32 v48, v49, v48
	v_fma_f16 v49, v15, s25, v62
	v_add_f16_e32 v48, v49, v48
	v_fma_f16 v49, v14, s27, v63
	v_add_f16_e32 v48, v49, v48
	v_fma_f16 v49, v11, s22, v64
	v_add_f16_e32 v48, v49, v48
	v_fma_f16 v49, v10, s19, v65
	v_add_f16_e32 v48, v49, v48
	v_fma_f16 v49, v7, s17, v66
	v_add_f16_e32 v48, v49, v48
	v_fma_f16 v49, v5, s6, v67
	v_add_f16_e32 v48, v49, v48
	v_fma_f16 v49, v25, s1, v68
	v_add_f16_e32 v6, v26, v6
	v_fma_f16 v26, v10, s25, v50
	v_add_f16_e32 v49, v1, v49
	v_fma_f16 v50, v16, s11, v70
	v_add_f16_e32 v49, v50, v49
	v_fma_f16 v50, v17, s13, v71
	v_add_f16_e32 v49, v50, v49
	v_fma_f16 v50, v12, s16, v72
	v_add_f16_e32 v49, v50, v49
	v_fma_f16 v50, v13, s15, v73
	v_add_f16_e32 v49, v50, v49
	v_fma_f16 v50, v8, s12, v74
	v_add_f16_e32 v49, v50, v49
	v_fma_f16 v50, v9, s10, v75
	v_add_f16_e32 v49, v50, v49
	v_fma_f16 v50, v4, s0, v76
	v_add_f16_e32 v49, v50, v49
	v_fma_f16 v50, v19, s18, v109
	v_add_f16_e32 v6, v26, v6
	v_fma_f16 v26, v7, s23, v51
	v_add_f16_sdwa v50, v1, v50 dst_sel:DWORD dst_unused:UNUSED_PAD src0_sel:WORD_1 src1_sel:DWORD
	v_fma_f16 v51, v18, s26, v111
	v_add_f16_e32 v50, v51, v50
	v_fma_f16 v51, v15, s6, v112
	v_add_f16_e32 v50, v51, v50
	;; [unrolled: 2-line block ×16, first 2 shown]
	v_fma_f16 v52, v19, s30, v60
	v_fma_f16 v19, v19, s19, v69
	v_add_f16_e32 v6, v26, v6
	v_pk_add_f16 v26, v1, v53 op_sel:[1,0] op_sel_hi:[0,1]
	v_add_f16_sdwa v52, v1, v52 dst_sel:DWORD dst_unused:UNUSED_PAD src0_sel:WORD_1 src1_sel:DWORD
	v_fma_f16 v53, v18, s25, v78
	v_fma_f16 v18, v18, s23, v110
	v_add_f16_sdwa v19, v1, v19 dst_sel:DWORD dst_unused:UNUSED_PAD src0_sel:WORD_1 src1_sel:DWORD
	v_add_f16_e32 v52, v53, v52
	v_fma_f16 v53, v15, s20, v87
	v_add_f16_e32 v18, v18, v19
	v_fma_f16 v15, v15, s31, v119
	;; [unrolled: 2-line block ×10, first 2 shown]
	v_fma_f16 v7, v7, s6, v130
	v_add_f16_e32 v7, v7, v10
	v_fma_f16 v10, v5, s18, v131
	v_add_f16_e32 v7, v10, v7
	;; [unrolled: 2-line block ×9, first 2 shown]
	v_fma_f16 v14, v8, s11, v138
	v_pk_add_f16 v26, v54, v26
	v_add_f16_e32 v53, v1, v53
	v_fma_f16 v54, v16, s13, v102
	v_add_f16_e32 v10, v14, v10
	v_fma_f16 v14, v9, s0, v139
	;; [unrolled: 2-line block ×4, first 2 shown]
	v_fma_f16 v15, v25, s16, v38
	v_add_f16_e32 v53, v54, v53
	v_fma_f16 v54, v12, s12, v104
	v_add_f16_e32 v10, v14, v10
	v_add_f16_sdwa v14, v1, v28 dst_sel:DWORD dst_unused:UNUSED_PAD src0_sel:WORD_1 src1_sel:DWORD
	v_add_f16_e32 v1, v1, v15
	v_fma_f16 v15, v16, s0, v39
	v_add_f16_e32 v53, v54, v53
	v_fma_f16 v54, v13, s1, v105
	;; [unrolled: 2-line block ×7, first 2 shown]
	v_pk_add_f16 v26, v55, v26
	v_add_f16_e32 v53, v54, v53
	v_fma_f16 v54, v4, s15, v108
	v_add_f16_e32 v1, v12, v1
	v_fma_f16 v8, v8, s10, v43
	v_pk_add_f16 v26, v56, v26
	v_add_f16_e32 v53, v54, v53
	v_add_f16_e32 v14, v30, v14
	;; [unrolled: 1-line block ×3, first 2 shown]
	v_fma_f16 v8, v9, s12, v44
	v_pk_add_f16 v26, v57, v26
	v_add_f16_e32 v14, v31, v14
	v_add_f16_e32 v1, v8, v1
	v_fma_f16 v4, v4, s11, v45
	v_pack_b32_f16 v8, v53, v52
	v_pack_b32_f16 v7, v10, v7
	v_pk_add_f16 v26, v58, v26
	v_add_f16_e32 v14, v33, v14
	v_add_f16_e32 v1, v4, v1
	v_pk_mul_f16 v4, v5, s21
	v_mul_f16_e32 v5, 0xb836, v5
	ds_write2_b32 v46, v7, v8 offset0:10 offset1:11
	v_pack_b32_f16 v7, v49, v48
	v_pack_b32_f16 v8, v51, v50
	v_add_f16_e32 v14, v34, v14
	ds_write2_b32 v46, v8, v7 offset0:12 offset1:13
	v_pack_b32_f16 v7, v11, v32
	v_bfi_b32 v4, s14, v27, v4
	v_bfi_b32 v5, s14, v5, v26
	v_add_f16_e32 v14, v35, v14
	v_pk_add_f16 v4, v7, v4
	v_pk_add_f16 v5, v85, v5 neg_lo:[0,1] neg_hi:[0,1]
	v_pk_add_f16 v7, v29, v26
	v_add_f16_e32 v14, v36, v14
	v_bfi_b32 v5, s14, v5, v7
	v_add_f16_e32 v14, v37, v14
	v_pk_add_f16 v4, v5, v4
	v_alignbit_b32 v5, v6, v4, 16
	v_pack_b32_f16 v4, v47, v4
	v_pack_b32_f16 v1, v1, v14
	ds_write2_b32 v46, v4, v5 offset0:14 offset1:15
	ds_write_b32 v46, v1 offset:64
.LBB0_12:
	s_or_b64 exec, exec, s[4:5]
	s_movk_i32 s0, 0xf1
	v_mul_lo_u16_sdwa v1, v0, s0 dst_sel:DWORD dst_unused:UNUSED_PAD src0_sel:BYTE_0 src1_sel:DWORD
	v_lshrrev_b16_e32 v1, 12, v1
	v_add_u16_e32 v5, 0x44, v0
	v_mul_lo_u16_e32 v4, 17, v1
	v_mul_lo_u16_sdwa v6, v5, s0 dst_sel:DWORD dst_unused:UNUSED_PAD src0_sel:BYTE_0 src1_sel:DWORD
	v_sub_u16_e32 v41, v0, v4
	v_mov_b32_e32 v42, 3
	v_lshrrev_b16_e32 v43, 12, v6
	v_mul_u32_u24_sdwa v4, v41, v42 dst_sel:DWORD dst_unused:UNUSED_PAD src0_sel:BYTE_0 src1_sel:DWORD
	v_mul_lo_u16_e32 v6, 17, v43
	v_lshlrev_b32_e32 v4, 2, v4
	v_sub_u16_e32 v44, v5, v6
	s_waitcnt lgkmcnt(0)
	s_barrier
	global_load_dwordx3 v[12:14], v4, s[8:9]
	v_mul_u32_u24_sdwa v4, v44, v42 dst_sel:DWORD dst_unused:UNUSED_PAD src0_sel:BYTE_0 src1_sel:DWORD
	v_lshlrev_b32_e32 v4, 2, v4
	v_add_u16_e32 v45, 0x88, v0
	global_load_dwordx3 v[15:17], v4, s[8:9]
	v_mul_lo_u16_sdwa v4, v45, s0 dst_sel:DWORD dst_unused:UNUSED_PAD src0_sel:BYTE_0 src1_sel:DWORD
	v_lshrrev_b16_e32 v46, 12, v4
	v_mul_lo_u16_e32 v4, 17, v46
	v_sub_u16_e32 v47, v45, v4
	v_mul_u32_u24_sdwa v4, v47, v42 dst_sel:DWORD dst_unused:UNUSED_PAD src0_sel:BYTE_0 src1_sel:DWORD
	v_lshlrev_b32_e32 v4, 2, v4
	v_add_u32_e32 v48, 0xcc, v0
	s_mov_b32 s0, 0xf0f1
	global_load_dwordx3 v[25:27], v4, s[8:9]
	v_mul_u32_u24_sdwa v49, v48, s0 dst_sel:DWORD dst_unused:UNUSED_PAD src0_sel:WORD_0 src1_sel:DWORD
	v_lshrrev_b32_e32 v50, 20, v49
	v_mul_lo_u16_e32 v4, 17, v50
	v_sub_u16_e32 v51, v48, v4
	v_mul_u32_u24_e32 v4, 3, v51
	v_lshlrev_b32_e32 v4, 2, v4
	global_load_dwordx3 v[28:30], v4, s[8:9]
	v_add_u32_e32 v9, 0x200, v23
	v_add_u32_e32 v11, 0x600, v23
	;; [unrolled: 1-line block ×3, first 2 shown]
	ds_read2_b32 v[4:5], v23 offset0:68 offset1:136
	v_add_u32_e32 v6, 0x400, v23
	v_add_u32_e32 v8, 0x800, v23
	v_add_u32_e32 v7, 0xc00, v23
	ds_read_b32 v52, v20
	ds_read_b32 v53, v23 offset:4080
	ds_read2_b32 v[18:19], v9 offset0:76 offset1:144
	ds_read2_b32 v[31:32], v11 offset0:92 offset1:160
	;; [unrolled: 1-line block ×6, first 2 shown]
	s_waitcnt lgkmcnt(4)
	v_lshrrev_b32_e32 v61, 16, v31
	s_waitcnt lgkmcnt(3)
	v_lshrrev_b32_e32 v55, 16, v33
	v_lshrrev_b32_e32 v58, 16, v34
	s_waitcnt lgkmcnt(2)
	v_lshrrev_b32_e32 v59, 16, v36
	s_waitcnt lgkmcnt(1)
	;; [unrolled: 2-line block ×3, first 2 shown]
	v_lshrrev_b32_e32 v62, 16, v39
	v_lshrrev_b32_e32 v54, 16, v53
	;; [unrolled: 1-line block ×7, first 2 shown]
	s_movk_i32 s0, 0x110
	v_mad_u32_u24 v1, v1, s0, 0
	s_waitcnt vmcnt(0)
	s_barrier
	s_add_u32 s6, s8, 0x10bc
	s_addc_u32 s7, s9, 0
	v_mul_f16_sdwa v66, v12, v63 dst_sel:DWORD dst_unused:UNUSED_PAD src0_sel:WORD_1 src1_sel:DWORD
	v_mul_f16_sdwa v67, v12, v19 dst_sel:DWORD dst_unused:UNUSED_PAD src0_sel:WORD_1 src1_sel:DWORD
	;; [unrolled: 1-line block ×4, first 2 shown]
	v_mul_f16_sdwa v72, v55, v15 dst_sel:DWORD dst_unused:UNUSED_PAD src0_sel:DWORD src1_sel:WORD_1
	v_mul_f16_sdwa v73, v33, v15 dst_sel:DWORD dst_unused:UNUSED_PAD src0_sel:DWORD src1_sel:WORD_1
	v_fma_f16 v33, v33, v15, -v72
	v_fma_f16 v15, v55, v15, v73
	v_mul_f16_sdwa v70, v14, v65 dst_sel:DWORD dst_unused:UNUSED_PAD src0_sel:WORD_1 src1_sel:DWORD
	v_mul_f16_sdwa v71, v14, v40 dst_sel:DWORD dst_unused:UNUSED_PAD src0_sel:WORD_1 src1_sel:DWORD
	v_fma_f16 v19, v12, v19, -v66
	v_fma_f16 v12, v12, v63, v67
	v_fma_f16 v32, v13, v32, -v68
	v_mul_f16_sdwa v78, v58, v25 dst_sel:DWORD dst_unused:UNUSED_PAD src0_sel:DWORD src1_sel:WORD_1
	v_fma_f16 v55, v34, v25, -v78
	v_mul_f16_sdwa v34, v34, v25 dst_sel:DWORD dst_unused:UNUSED_PAD src0_sel:DWORD src1_sel:WORD_1
	v_fma_f16 v25, v58, v25, v34
	v_mul_f16_sdwa v34, v59, v26 dst_sel:DWORD dst_unused:UNUSED_PAD src0_sel:DWORD src1_sel:WORD_1
	v_fma_f16 v34, v36, v26, -v34
	v_mul_f16_sdwa v36, v36, v26 dst_sel:DWORD dst_unused:UNUSED_PAD src0_sel:DWORD src1_sel:WORD_1
	v_fma_f16 v26, v59, v26, v36
	;; [unrolled: 4-line block ×6, first 2 shown]
	v_fma_f16 v40, v14, v40, -v70
	v_fma_f16 v14, v14, v65, v71
	v_fma_f16 v30, v54, v30, v53
	v_lshrrev_b32_e32 v53, 16, v52
	v_sub_f16_e32 v32, v52, v32
	v_sub_f16_e32 v13, v53, v13
	;; [unrolled: 1-line block ×4, first 2 shown]
	v_mul_f16_sdwa v74, v56, v16 dst_sel:DWORD dst_unused:UNUSED_PAD src0_sel:DWORD src1_sel:WORD_1
	v_mul_f16_sdwa v75, v35, v16 dst_sel:DWORD dst_unused:UNUSED_PAD src0_sel:DWORD src1_sel:WORD_1
	;; [unrolled: 1-line block ×4, first 2 shown]
	v_fma_f16 v52, v52, 2.0, -v32
	v_fma_f16 v53, v53, 2.0, -v13
	;; [unrolled: 1-line block ×4, first 2 shown]
	v_fma_f16 v35, v35, v16, -v74
	v_fma_f16 v16, v56, v16, v75
	v_fma_f16 v37, v37, v17, -v76
	v_fma_f16 v17, v57, v17, v77
	v_sub_f16_e32 v19, v52, v19
	v_sub_f16_e32 v12, v53, v12
	;; [unrolled: 1-line block ×3, first 2 shown]
	v_add_f16_e32 v40, v13, v40
	v_lshrrev_b32_e32 v54, 16, v4
	v_mov_b32_e32 v58, 2
	v_fma_f16 v52, v52, 2.0, -v19
	v_fma_f16 v53, v53, 2.0, -v12
	;; [unrolled: 1-line block ×4, first 2 shown]
	v_sub_f16_e32 v35, v4, v35
	v_sub_f16_e32 v16, v54, v16
	;; [unrolled: 1-line block ×4, first 2 shown]
	v_lshlrev_b32_sdwa v41, v58, v41 dst_sel:DWORD dst_unused:UNUSED_PAD src0_sel:DWORD src1_sel:BYTE_0
	v_fma_f16 v4, v4, 2.0, -v35
	v_fma_f16 v54, v54, 2.0, -v16
	;; [unrolled: 1-line block ×4, first 2 shown]
	v_add3_u32 v1, v1, v41, v24
	v_pack_b32_f16 v41, v52, v53
	v_pack_b32_f16 v13, v32, v13
	v_sub_f16_e32 v33, v4, v33
	v_sub_f16_e32 v15, v54, v15
	;; [unrolled: 1-line block ×3, first 2 shown]
	v_add_f16_e32 v37, v16, v37
	v_lshrrev_b32_e32 v56, 16, v5
	ds_write2_b32 v1, v41, v13 offset1:17
	v_pack_b32_f16 v12, v19, v12
	v_pack_b32_f16 v13, v14, v40
	v_fma_f16 v4, v4, 2.0, -v33
	v_fma_f16 v54, v54, 2.0, -v15
	;; [unrolled: 1-line block ×4, first 2 shown]
	v_sub_f16_e32 v34, v5, v34
	v_sub_f16_e32 v26, v56, v26
	;; [unrolled: 1-line block ×4, first 2 shown]
	ds_write2_b32 v1, v12, v13 offset0:34 offset1:51
	v_mad_u32_u24 v1, v43, s0, 0
	v_lshlrev_b32_sdwa v12, v58, v44 dst_sel:DWORD dst_unused:UNUSED_PAD src0_sel:DWORD src1_sel:BYTE_0
	v_fma_f16 v5, v5, 2.0, -v34
	v_fma_f16 v56, v56, 2.0, -v26
	;; [unrolled: 1-line block ×4, first 2 shown]
	v_add3_u32 v1, v1, v12, v24
	v_pack_b32_f16 v4, v4, v54
	v_pack_b32_f16 v12, v35, v16
	v_sub_f16_e32 v55, v5, v55
	v_sub_f16_e32 v25, v56, v25
	;; [unrolled: 1-line block ×3, first 2 shown]
	v_add_f16_e32 v36, v26, v36
	v_lshrrev_b32_e32 v57, 16, v18
	ds_write2_b32 v1, v4, v12 offset1:17
	v_pack_b32_f16 v4, v33, v15
	v_pack_b32_f16 v12, v17, v37
	v_fma_f16 v5, v5, 2.0, -v55
	v_fma_f16 v56, v56, 2.0, -v25
	;; [unrolled: 1-line block ×4, first 2 shown]
	v_sub_f16_e32 v31, v18, v31
	v_sub_f16_e32 v29, v57, v29
	;; [unrolled: 1-line block ×4, first 2 shown]
	ds_write2_b32 v1, v4, v12 offset0:34 offset1:51
	v_mad_u32_u24 v1, v46, s0, 0
	v_lshlrev_b32_sdwa v4, v58, v47 dst_sel:DWORD dst_unused:UNUSED_PAD src0_sel:DWORD src1_sel:BYTE_0
	v_fma_f16 v18, v18, 2.0, -v31
	v_fma_f16 v57, v57, 2.0, -v29
	;; [unrolled: 1-line block ×4, first 2 shown]
	v_add3_u32 v1, v1, v4, v24
	v_pack_b32_f16 v4, v5, v56
	v_pack_b32_f16 v5, v34, v26
	v_sub_f16_e32 v38, v18, v38
	v_sub_f16_e32 v28, v57, v28
	;; [unrolled: 1-line block ×3, first 2 shown]
	v_add_f16_e32 v39, v29, v39
	ds_write2_b32 v1, v4, v5 offset1:17
	v_pack_b32_f16 v4, v55, v25
	v_pack_b32_f16 v5, v27, v36
	v_fma_f16 v18, v18, 2.0, -v38
	v_fma_f16 v57, v57, 2.0, -v28
	;; [unrolled: 1-line block ×4, first 2 shown]
	ds_write2_b32 v1, v4, v5 offset0:34 offset1:51
	v_mad_u32_u24 v1, v50, s0, 0
	v_lshlrev_b32_e32 v4, 2, v51
	v_add3_u32 v1, v1, v4, v24
	v_pack_b32_f16 v4, v18, v57
	v_pack_b32_f16 v5, v31, v29
	ds_write2_b32 v1, v4, v5 offset1:17
	v_pack_b32_f16 v4, v38, v28
	v_pack_b32_f16 v5, v30, v39
	ds_write2_b32 v1, v4, v5 offset0:34 offset1:51
	v_mul_u32_u24_e32 v1, 3, v0
	v_lshlrev_b32_e32 v1, 2, v1
	s_waitcnt lgkmcnt(0)
	s_barrier
	global_load_dwordx3 v[12:14], v1, s[8:9] offset:204
	s_movk_i32 s0, 0x79
	v_mul_lo_u16_sdwa v1, v45, s0 dst_sel:DWORD dst_unused:UNUSED_PAD src0_sel:BYTE_0 src1_sel:DWORD
	v_lshrrev_b16_e32 v1, 13, v1
	v_mul_lo_u16_e32 v1, 0x44, v1
	v_sub_u16_e32 v1, v45, v1
	v_mul_u32_u24_sdwa v4, v1, v42 dst_sel:DWORD dst_unused:UNUSED_PAD src0_sel:BYTE_0 src1_sel:DWORD
	v_lshlrev_b32_e32 v4, 2, v4
	global_load_dwordx3 v[15:17], v4, s[8:9] offset:204
	v_lshrrev_b32_e32 v4, 22, v49
	v_mul_lo_u16_e32 v4, 0x44, v4
	v_sub_u16_e32 v38, v48, v4
	v_mul_u32_u24_e32 v4, 3, v38
	v_lshlrev_b32_e32 v4, 2, v4
	global_load_dwordx3 v[25:27], v4, s[8:9] offset:204
	ds_read2_b32 v[4:5], v9 offset0:76 offset1:144
	ds_read2_b32 v[18:19], v11 offset0:92 offset1:160
	;; [unrolled: 1-line block ×7, first 2 shown]
	s_waitcnt lgkmcnt(6)
	v_lshrrev_b32_e32 v49, 16, v5
	ds_read_b32 v41, v20
	ds_read_u16 v42, v23 offset:2450
	ds_read_b32 v43, v23 offset:4080
	s_waitcnt lgkmcnt(7)
	v_lshrrev_b32_e32 v39, 16, v28
	s_waitcnt lgkmcnt(6)
	v_lshrrev_b32_e32 v40, 16, v31
	;; [unrolled: 2-line block ×3, first 2 shown]
	v_lshrrev_b32_e32 v45, 16, v29
	v_lshrrev_b32_e32 v46, 16, v18
	;; [unrolled: 1-line block ×3, first 2 shown]
	s_waitcnt lgkmcnt(0)
	v_lshrrev_b32_e32 v48, 16, v43
	s_waitcnt vmcnt(0)
	s_barrier
	v_lshlrev_b32_sdwa v1, v58, v1 dst_sel:DWORD dst_unused:UNUSED_PAD src0_sel:DWORD src1_sel:BYTE_0
	v_add3_u32 v1, 0, v1, v24
	v_add_u32_e32 v1, 0x800, v1
	v_mul_f16_sdwa v50, v12, v49 dst_sel:DWORD dst_unused:UNUSED_PAD src0_sel:WORD_1 src1_sel:DWORD
	v_fma_f16 v50, v12, v5, -v50
	v_mul_f16_sdwa v5, v12, v5 dst_sel:DWORD dst_unused:UNUSED_PAD src0_sel:WORD_1 src1_sel:DWORD
	v_fma_f16 v5, v12, v49, v5
	v_lshrrev_b32_e32 v49, 16, v19
	v_mul_f16_sdwa v51, v13, v49 dst_sel:DWORD dst_unused:UNUSED_PAD src0_sel:WORD_1 src1_sel:DWORD
	v_fma_f16 v51, v13, v19, -v51
	v_mul_f16_sdwa v19, v13, v19 dst_sel:DWORD dst_unused:UNUSED_PAD src0_sel:WORD_1 src1_sel:DWORD
	v_fma_f16 v19, v13, v49, v19
	v_lshrrev_b32_e32 v49, 16, v33
	;; [unrolled: 5-line block ×3, first 2 shown]
	v_mul_f16_sdwa v53, v12, v49 dst_sel:DWORD dst_unused:UNUSED_PAD src0_sel:WORD_1 src1_sel:DWORD
	v_fma_f16 v53, v12, v30, -v53
	v_mul_f16_sdwa v30, v12, v30 dst_sel:DWORD dst_unused:UNUSED_PAD src0_sel:WORD_1 src1_sel:DWORD
	v_fma_f16 v12, v12, v49, v30
	v_mul_f16_sdwa v30, v42, v13 dst_sel:DWORD dst_unused:UNUSED_PAD src0_sel:DWORD src1_sel:WORD_1
	v_fma_f16 v30, v13, v36, -v30
	v_mul_f16_sdwa v36, v13, v36 dst_sel:DWORD dst_unused:UNUSED_PAD src0_sel:WORD_1 src1_sel:DWORD
	v_fma_f16 v13, v42, v13, v36
	v_mul_f16_sdwa v36, v39, v14 dst_sel:DWORD dst_unused:UNUSED_PAD src0_sel:DWORD src1_sel:WORD_1
	v_fma_f16 v36, v28, v14, -v36
	v_mul_f16_sdwa v28, v28, v14 dst_sel:DWORD dst_unused:UNUSED_PAD src0_sel:DWORD src1_sel:WORD_1
	v_fma_f16 v14, v39, v14, v28
	v_mul_f16_sdwa v28, v40, v15 dst_sel:DWORD dst_unused:UNUSED_PAD src0_sel:DWORD src1_sel:WORD_1
	v_fma_f16 v28, v31, v15, -v28
	v_mul_f16_sdwa v31, v31, v15 dst_sel:DWORD dst_unused:UNUSED_PAD src0_sel:DWORD src1_sel:WORD_1
	v_fma_f16 v15, v40, v15, v31
	v_mul_f16_sdwa v31, v44, v16 dst_sel:DWORD dst_unused:UNUSED_PAD src0_sel:DWORD src1_sel:WORD_1
	v_fma_f16 v31, v37, v16, -v31
	v_mul_f16_sdwa v37, v37, v16 dst_sel:DWORD dst_unused:UNUSED_PAD src0_sel:DWORD src1_sel:WORD_1
	v_fma_f16 v16, v44, v16, v37
	v_mul_f16_sdwa v37, v45, v17 dst_sel:DWORD dst_unused:UNUSED_PAD src0_sel:DWORD src1_sel:WORD_1
	v_fma_f16 v37, v29, v17, -v37
	v_mul_f16_sdwa v29, v29, v17 dst_sel:DWORD dst_unused:UNUSED_PAD src0_sel:DWORD src1_sel:WORD_1
	v_fma_f16 v17, v45, v17, v29
	v_mul_f16_sdwa v29, v46, v25 dst_sel:DWORD dst_unused:UNUSED_PAD src0_sel:DWORD src1_sel:WORD_1
	v_fma_f16 v29, v18, v25, -v29
	v_mul_f16_sdwa v18, v18, v25 dst_sel:DWORD dst_unused:UNUSED_PAD src0_sel:DWORD src1_sel:WORD_1
	v_fma_f16 v18, v46, v25, v18
	v_mul_f16_sdwa v25, v47, v26 dst_sel:DWORD dst_unused:UNUSED_PAD src0_sel:DWORD src1_sel:WORD_1
	v_fma_f16 v25, v32, v26, -v25
	v_mul_f16_sdwa v32, v32, v26 dst_sel:DWORD dst_unused:UNUSED_PAD src0_sel:DWORD src1_sel:WORD_1
	v_fma_f16 v26, v47, v26, v32
	v_mul_f16_sdwa v32, v48, v27 dst_sel:DWORD dst_unused:UNUSED_PAD src0_sel:DWORD src1_sel:WORD_1
	v_mul_f16_sdwa v39, v43, v27 dst_sel:DWORD dst_unused:UNUSED_PAD src0_sel:DWORD src1_sel:WORD_1
	v_fma_f16 v32, v43, v27, -v32
	v_fma_f16 v27, v48, v27, v39
	v_lshrrev_b32_e32 v39, 16, v41
	v_sub_f16_e32 v40, v41, v51
	v_sub_f16_e32 v19, v39, v19
	;; [unrolled: 1-line block ×4, first 2 shown]
	v_fma_f16 v41, v41, 2.0, -v40
	v_fma_f16 v39, v39, 2.0, -v19
	;; [unrolled: 1-line block ×4, first 2 shown]
	v_lshrrev_b32_e32 v44, 16, v34
	v_sub_f16_e32 v43, v41, v43
	v_sub_f16_e32 v5, v39, v5
	;; [unrolled: 1-line block ×3, first 2 shown]
	v_add_f16_e32 v42, v19, v42
	v_sub_f16_e32 v30, v34, v30
	v_sub_f16_e32 v13, v44, v13
	;; [unrolled: 1-line block ×4, first 2 shown]
	v_fma_f16 v41, v41, 2.0, -v43
	v_fma_f16 v39, v39, 2.0, -v5
	;; [unrolled: 1-line block ×8, first 2 shown]
	v_lshrrev_b32_e32 v46, 16, v35
	v_sub_f16_e32 v45, v34, v45
	v_sub_f16_e32 v12, v44, v12
	;; [unrolled: 1-line block ×3, first 2 shown]
	v_add_f16_e32 v36, v13, v36
	v_sub_f16_e32 v31, v35, v31
	v_sub_f16_e32 v16, v46, v16
	;; [unrolled: 1-line block ×4, first 2 shown]
	v_pack_b32_f16 v39, v41, v39
	v_pack_b32_f16 v19, v40, v19
	v_fma_f16 v34, v34, 2.0, -v45
	v_fma_f16 v44, v44, 2.0, -v12
	;; [unrolled: 1-line block ×8, first 2 shown]
	ds_write2_b32 v23, v39, v19 offset1:68
	v_pack_b32_f16 v5, v43, v5
	v_pack_b32_f16 v19, v33, v42
	v_sub_f16_e32 v28, v35, v28
	v_sub_f16_e32 v15, v46, v15
	v_sub_f16_e32 v17, v31, v17
	v_add_f16_e32 v37, v16, v37
	ds_write2_b32 v23, v5, v19 offset0:136 offset1:204
	v_pack_b32_f16 v5, v34, v44
	v_pack_b32_f16 v13, v30, v13
	v_fma_f16 v35, v35, 2.0, -v28
	v_fma_f16 v46, v46, 2.0, -v15
	;; [unrolled: 1-line block ×4, first 2 shown]
	v_lshrrev_b32_e32 v47, 16, v4
	ds_write2_b32 v6, v5, v13 offset0:16 offset1:84
	v_pack_b32_f16 v5, v45, v12
	v_pack_b32_f16 v12, v14, v36
	v_sub_f16_e32 v25, v4, v25
	v_sub_f16_e32 v26, v47, v26
	v_sub_f16_e32 v32, v29, v32
	v_sub_f16_e32 v27, v18, v27
	ds_write2_b32 v6, v5, v12 offset0:152 offset1:220
	v_pack_b32_f16 v5, v35, v46
	v_pack_b32_f16 v12, v31, v16
	v_fma_f16 v4, v4, 2.0, -v25
	v_fma_f16 v47, v47, 2.0, -v26
	;; [unrolled: 1-line block ×4, first 2 shown]
	ds_write2_b32 v1, v5, v12 offset0:32 offset1:100
	v_pack_b32_f16 v5, v28, v15
	v_pack_b32_f16 v12, v17, v37
	v_sub_f16_e32 v29, v4, v29
	v_sub_f16_e32 v18, v47, v18
	;; [unrolled: 1-line block ×3, first 2 shown]
	v_add_f16_e32 v32, v26, v32
	ds_write2_b32 v1, v5, v12 offset0:168 offset1:236
	v_lshlrev_b32_e32 v1, 2, v38
	v_fma_f16 v4, v4, 2.0, -v29
	v_fma_f16 v47, v47, 2.0, -v18
	;; [unrolled: 1-line block ×4, first 2 shown]
	v_add3_u32 v1, 0, v1, v24
	v_pack_b32_f16 v4, v4, v47
	v_pack_b32_f16 v5, v25, v26
	v_add_u32_e32 v1, 0xc00, v1
	ds_write2_b32 v1, v4, v5 offset0:48 offset1:116
	v_pack_b32_f16 v4, v29, v18
	v_pack_b32_f16 v5, v27, v32
	ds_write2_b32 v1, v4, v5 offset0:184 offset1:252
	v_mov_b32_e32 v1, 0
	v_lshlrev_b64 v[4:5], 2, v[0:1]
	v_mov_b32_e32 v1, s9
	v_add_co_u32_e64 v12, s[0:1], s8, v4
	v_addc_co_u32_e64 v13, s[0:1], v1, v5, s[0:1]
	s_waitcnt lgkmcnt(0)
	s_barrier
	global_load_dword v1, v[12:13], off offset:1020
	global_load_dword v30, v[12:13], off offset:1292
	;; [unrolled: 1-line block ×4, first 2 shown]
	ds_read2_b32 v[14:15], v11 offset0:92 offset1:160
	ds_read2_b32 v[16:17], v23 offset0:68 offset1:136
	;; [unrolled: 1-line block ×6, first 2 shown]
	ds_read_b32 v34, v20
	s_mov_b32 s0, 0xffff
	s_waitcnt vmcnt(3) lgkmcnt(6)
	v_pk_mul_f16 v33, v1, v15 op_sel:[0,1]
	v_pk_fma_f16 v35, v1, v15, v33 op_sel:[0,0,1] op_sel_hi:[1,1,0] neg_lo:[0,0,1] neg_hi:[0,0,1]
	v_pk_fma_f16 v15, v1, v15, v33 op_sel:[0,0,1] op_sel_hi:[1,0,0]
	ds_read_b32 v33, v23 offset:4080
	v_bfi_b32 v15, s0, v35, v15
	s_waitcnt lgkmcnt(1)
	v_pk_add_f16 v35, v34, v15 neg_lo:[0,1] neg_hi:[0,1]
	s_waitcnt vmcnt(2)
	v_pk_mul_f16 v15, v30, v18 op_sel:[0,1]
	v_pk_fma_f16 v36, v30, v18, v15 op_sel:[0,0,1] op_sel_hi:[1,1,0] neg_lo:[0,0,1] neg_hi:[0,0,1]
	v_pk_fma_f16 v15, v30, v18, v15 op_sel:[0,0,1] op_sel_hi:[1,0,0]
	v_bfi_b32 v15, s0, v36, v15
	v_pk_add_f16 v18, v16, v15 neg_lo:[0,1] neg_hi:[0,1]
	s_waitcnt vmcnt(1)
	v_pk_mul_f16 v15, v31, v19 op_sel:[0,1]
	v_pk_fma_f16 v36, v16, 2.0, v18 op_sel_hi:[1,0,1] neg_lo:[0,0,1] neg_hi:[0,0,1]
	v_pk_fma_f16 v16, v31, v19, v15 op_sel:[0,0,1] op_sel_hi:[1,1,0] neg_lo:[0,0,1] neg_hi:[0,0,1]
	v_pk_fma_f16 v15, v31, v19, v15 op_sel:[0,0,1] op_sel_hi:[1,0,0]
	v_bfi_b32 v15, s0, v16, v15
	v_pk_add_f16 v19, v17, v15 neg_lo:[0,1] neg_hi:[0,1]
	s_waitcnt vmcnt(0)
	v_pk_mul_f16 v15, v32, v26 op_sel:[0,1]
	v_pk_fma_f16 v16, v32, v26, v15 op_sel:[0,0,1] op_sel_hi:[1,1,0] neg_lo:[0,0,1] neg_hi:[0,0,1]
	v_pk_fma_f16 v15, v32, v26, v15 op_sel:[0,0,1] op_sel_hi:[1,0,0]
	v_bfi_b32 v15, s0, v16, v15
	v_pk_add_f16 v26, v24, v15 neg_lo:[0,1] neg_hi:[0,1]
	ds_read2_b32 v[15:16], v7 offset0:116 offset1:184
	v_pk_mul_f16 v37, v27, v1 op_sel:[0,1]
	v_pk_fma_f16 v38, v27, v1, v37 op_sel:[0,0,1] op_sel_hi:[1,1,0] neg_lo:[0,0,1] neg_hi:[0,0,1]
	v_pk_fma_f16 v1, v27, v1, v37 op_sel:[0,0,1] op_sel_hi:[1,0,0]
	v_bfi_b32 v1, s0, v38, v1
	s_waitcnt lgkmcnt(0)
	v_pk_mul_f16 v27, v15, v30 op_sel:[0,1]
	v_pk_fma_f16 v37, v15, v30, v27 op_sel:[0,0,1] op_sel_hi:[1,1,0] neg_lo:[0,0,1] neg_hi:[0,0,1]
	v_pk_fma_f16 v15, v15, v30, v27 op_sel:[0,0,1] op_sel_hi:[1,0,0]
	v_bfi_b32 v15, s0, v37, v15
	v_pk_add_f16 v15, v28, v15 neg_lo:[0,1] neg_hi:[0,1]
	v_pk_fma_f16 v27, v28, 2.0, v15 op_sel_hi:[1,0,1] neg_lo:[0,0,1] neg_hi:[0,0,1]
	v_pk_mul_f16 v28, v16, v31 op_sel:[0,1]
	v_pk_fma_f16 v30, v16, v31, v28 op_sel:[0,0,1] op_sel_hi:[1,1,0] neg_lo:[0,0,1] neg_hi:[0,0,1]
	v_pk_fma_f16 v16, v16, v31, v28 op_sel:[0,0,1] op_sel_hi:[1,0,0]
	v_bfi_b32 v16, s0, v30, v16
	v_pk_add_f16 v16, v29, v16 neg_lo:[0,1] neg_hi:[0,1]
	v_pk_fma_f16 v28, v29, 2.0, v16 op_sel_hi:[1,0,1] neg_lo:[0,0,1] neg_hi:[0,0,1]
	v_pk_mul_f16 v29, v33, v32 op_sel:[0,1]
	v_pk_fma_f16 v30, v33, v32, v29 op_sel:[0,0,1] op_sel_hi:[1,1,0] neg_lo:[0,0,1] neg_hi:[0,0,1]
	v_pk_fma_f16 v29, v33, v32, v29 op_sel:[0,0,1] op_sel_hi:[1,0,0]
	v_bfi_b32 v29, s0, v30, v29
	v_pk_fma_f16 v34, v34, 2.0, v35 op_sel_hi:[1,0,1] neg_lo:[0,0,1] neg_hi:[0,0,1]
	v_pk_add_f16 v1, v25, v1 neg_lo:[0,1] neg_hi:[0,1]
	v_pk_add_f16 v29, v14, v29 neg_lo:[0,1] neg_hi:[0,1]
	v_pk_fma_f16 v17, v17, 2.0, v19 op_sel_hi:[1,0,1] neg_lo:[0,0,1] neg_hi:[0,0,1]
	v_pk_fma_f16 v24, v24, 2.0, v26 op_sel_hi:[1,0,1] neg_lo:[0,0,1] neg_hi:[0,0,1]
	;; [unrolled: 1-line block ×4, first 2 shown]
	s_barrier
	ds_write2_b32 v23, v34, v36 offset1:68
	ds_write2_b32 v6, v35, v18 offset0:16 offset1:84
	ds_write2_b32 v23, v17, v24 offset0:136 offset1:204
	;; [unrolled: 1-line block ×7, first 2 shown]
	s_waitcnt lgkmcnt(0)
	s_barrier
	global_load_dword v1, v[12:13], off offset:2108
	global_load_dword v19, v[12:13], off offset:2380
	;; [unrolled: 1-line block ×8, first 2 shown]
	ds_read2_b32 v[11:12], v11 offset0:92 offset1:160
	ds_read2_b32 v[13:14], v23 offset0:68 offset1:136
	;; [unrolled: 1-line block ×6, first 2 shown]
	ds_read_b32 v33, v20
	s_waitcnt vmcnt(7) lgkmcnt(6)
	v_pk_mul_f16 v32, v1, v12 op_sel:[0,1]
	v_pk_fma_f16 v34, v1, v12, v32 op_sel:[0,0,1] op_sel_hi:[1,1,0] neg_lo:[0,0,1] neg_hi:[0,0,1]
	v_pk_fma_f16 v1, v1, v12, v32 op_sel:[0,0,1] op_sel_hi:[1,0,0]
	ds_read_b32 v32, v23 offset:4080
	s_waitcnt vmcnt(6) lgkmcnt(5)
	v_pk_mul_f16 v12, v19, v15 op_sel:[0,1]
	v_bfi_b32 v1, s0, v34, v1
	v_pk_fma_f16 v34, v19, v15, v12 op_sel:[0,0,1] op_sel_hi:[1,1,0] neg_lo:[0,0,1] neg_hi:[0,0,1]
	v_pk_fma_f16 v12, v19, v15, v12 op_sel:[0,0,1] op_sel_hi:[1,0,0]
	v_bfi_b32 v12, s0, v34, v12
	v_pk_add_f16 v15, v13, v12 neg_lo:[0,1] neg_hi:[0,1]
	s_waitcnt vmcnt(5)
	v_pk_mul_f16 v12, v26, v16 op_sel:[0,1]
	v_pk_fma_f16 v19, v13, 2.0, v15 op_sel_hi:[1,0,1] neg_lo:[0,0,1] neg_hi:[0,0,1]
	v_pk_fma_f16 v13, v26, v16, v12 op_sel:[0,0,1] op_sel_hi:[1,1,0] neg_lo:[0,0,1] neg_hi:[0,0,1]
	v_pk_fma_f16 v12, v26, v16, v12 op_sel:[0,0,1] op_sel_hi:[1,0,0]
	v_bfi_b32 v12, s0, v13, v12
	v_pk_add_f16 v16, v14, v12 neg_lo:[0,1] neg_hi:[0,1]
	s_waitcnt vmcnt(1) lgkmcnt(3)
	v_pk_mul_f16 v12, v30, v9 op_sel:[0,1]
	v_pk_fma_f16 v13, v30, v9, v12 op_sel:[0,0,1] op_sel_hi:[1,1,0] neg_lo:[0,0,1] neg_hi:[0,0,1]
	v_pk_fma_f16 v9, v30, v9, v12 op_sel:[0,0,1] op_sel_hi:[1,0,0]
	v_bfi_b32 v9, s0, v13, v9
	ds_read2_b32 v[12:13], v7 offset0:116 offset1:184
	s_waitcnt vmcnt(0)
	v_pk_mul_f16 v26, v10, v31 op_sel:[0,1]
	v_pk_fma_f16 v30, v10, v31, v26 op_sel:[0,0,1] op_sel_hi:[1,1,0] neg_lo:[0,0,1] neg_hi:[0,0,1]
	v_pk_fma_f16 v10, v10, v31, v26 op_sel:[0,0,1] op_sel_hi:[1,0,0]
	v_bfi_b32 v10, s0, v30, v10
	s_waitcnt lgkmcnt(0)
	v_pk_mul_f16 v26, v12, v27 op_sel:[0,1]
	v_pk_fma_f16 v30, v12, v27, v26 op_sel:[0,0,1] op_sel_hi:[1,1,0] neg_lo:[0,0,1] neg_hi:[0,0,1]
	v_pk_fma_f16 v12, v12, v27, v26 op_sel:[0,0,1] op_sel_hi:[1,0,0]
	v_pk_mul_f16 v26, v13, v28 op_sel:[0,1]
	v_pk_fma_f16 v27, v13, v28, v26 op_sel:[0,0,1] op_sel_hi:[1,1,0] neg_lo:[0,0,1] neg_hi:[0,0,1]
	v_pk_fma_f16 v13, v13, v28, v26 op_sel:[0,0,1] op_sel_hi:[1,0,0]
	v_pk_mul_f16 v26, v32, v29 op_sel:[0,1]
	v_bfi_b32 v13, s0, v27, v13
	v_pk_fma_f16 v27, v32, v29, v26 op_sel:[0,0,1] op_sel_hi:[1,1,0] neg_lo:[0,0,1] neg_hi:[0,0,1]
	v_pk_fma_f16 v26, v32, v29, v26 op_sel:[0,0,1] op_sel_hi:[1,0,0]
	v_pk_add_f16 v1, v33, v1 neg_lo:[0,1] neg_hi:[0,1]
	v_bfi_b32 v12, s0, v30, v12
	v_bfi_b32 v26, s0, v27, v26
	v_pk_fma_f16 v33, v33, 2.0, v1 op_sel_hi:[1,0,1] neg_lo:[0,0,1] neg_hi:[0,0,1]
	v_pk_add_f16 v9, v17, v9 neg_lo:[0,1] neg_hi:[0,1]
	v_pk_add_f16 v10, v18, v10 neg_lo:[0,1] neg_hi:[0,1]
	v_pk_add_f16 v12, v24, v12 neg_lo:[0,1] neg_hi:[0,1]
	v_pk_add_f16 v13, v25, v13 neg_lo:[0,1] neg_hi:[0,1]
	v_pk_add_f16 v26, v11, v26 neg_lo:[0,1] neg_hi:[0,1]
	v_pk_fma_f16 v14, v14, 2.0, v16 op_sel_hi:[1,0,1] neg_lo:[0,0,1] neg_hi:[0,0,1]
	v_pk_fma_f16 v17, v17, 2.0, v9 op_sel_hi:[1,0,1] neg_lo:[0,0,1] neg_hi:[0,0,1]
	v_pk_fma_f16 v18, v18, 2.0, v10 op_sel_hi:[1,0,1] neg_lo:[0,0,1] neg_hi:[0,0,1]
	v_pk_fma_f16 v24, v24, 2.0, v12 op_sel_hi:[1,0,1] neg_lo:[0,0,1] neg_hi:[0,0,1]
	v_pk_fma_f16 v25, v25, 2.0, v13 op_sel_hi:[1,0,1] neg_lo:[0,0,1] neg_hi:[0,0,1]
	v_pk_fma_f16 v11, v11, 2.0, v26 op_sel_hi:[1,0,1] neg_lo:[0,0,1] neg_hi:[0,0,1]
	s_barrier
	ds_write2_b32 v23, v33, v19 offset1:68
	ds_write2_b32 v8, v1, v15 offset0:32 offset1:100
	ds_write2_b32 v23, v14, v17 offset0:136 offset1:204
	;; [unrolled: 1-line block ×7, first 2 shown]
	s_waitcnt lgkmcnt(0)
	s_barrier
	ds_read_b32 v8, v20
	v_sub_u32_e32 v1, v22, v21
	v_cmp_ne_u32_e64 s[0:1], 0, v0
                                        ; implicit-def: $vgpr7
                                        ; implicit-def: $vgpr6
	s_and_saveexec_b64 s[4:5], s[0:1]
	s_xor_b64 s[4:5], exec, s[4:5]
	s_cbranch_execz .LBB0_14
; %bb.13:
	v_mov_b32_e32 v7, s7
	v_add_co_u32_e64 v6, s[0:1], s6, v4
	v_addc_co_u32_e64 v7, s[0:1], v7, v5, s[0:1]
	global_load_dword v7, v[6:7], off
	ds_read_b32 v6, v1 offset:4352
                                        ; implicit-def: $vgpr22
	s_waitcnt lgkmcnt(0)
	v_add_f16_e32 v9, v6, v8
	v_add_f16_sdwa v10, v6, v8 dst_sel:DWORD dst_unused:UNUSED_PAD src0_sel:WORD_1 src1_sel:WORD_1
	v_sub_f16_e32 v11, v8, v6
	v_sub_f16_sdwa v6, v8, v6 dst_sel:DWORD dst_unused:UNUSED_PAD src0_sel:WORD_1 src1_sel:WORD_1
	v_mul_f16_e32 v8, 0.5, v10
	v_mul_f16_e32 v10, 0.5, v11
	v_mul_f16_e32 v6, 0.5, v6
	s_waitcnt vmcnt(0)
	v_lshrrev_b32_e32 v11, 16, v7
	v_mul_f16_e32 v12, v11, v10
	v_fma_f16 v13, v8, v11, v6
	v_fma_f16 v6, v8, v11, -v6
	v_fma_f16 v11, v9, 0.5, v12
	v_fma_f16 v13, -v7, v10, v13
	v_fma_f16 v9, v9, 0.5, -v12
	v_fma_f16 v10, -v7, v10, v6
	v_fma_f16 v6, v7, v8, v11
	ds_write_b16 v20, v13 offset:2
	v_fma_f16 v7, -v7, v8, v9
	ds_write_b16 v1, v10 offset:4354
                                        ; implicit-def: $vgpr8
.LBB0_14:
	s_andn2_saveexec_b64 s[0:1], s[4:5]
	s_cbranch_execz .LBB0_16
; %bb.15:
	v_mov_b32_e32 v6, 0
	ds_write_b16 v20, v6 offset:2
	ds_write_b16 v1, v6 offset:4354
	ds_read_u16 v9, v22 offset:2178
	s_waitcnt lgkmcnt(3)
	v_add_f16_sdwa v6, v8, v8 dst_sel:DWORD dst_unused:UNUSED_PAD src0_sel:WORD_1 src1_sel:DWORD
	v_sub_f16_sdwa v7, v8, v8 dst_sel:DWORD dst_unused:UNUSED_PAD src0_sel:DWORD src1_sel:WORD_1
	s_waitcnt lgkmcnt(0)
	v_xor_b32_e32 v8, 0x8000, v9
	ds_write_b16 v22, v8 offset:2178
.LBB0_16:
	s_or_b64 exec, exec, s[0:1]
	v_mov_b32_e32 v9, s7
	s_waitcnt lgkmcnt(0)
	v_add_co_u32_e64 v8, s[0:1], s6, v4
	v_addc_co_u32_e64 v9, s[0:1], v9, v5, s[0:1]
	global_load_dword v10, v[8:9], off offset:272
	global_load_dword v11, v[8:9], off offset:544
	;; [unrolled: 1-line block ×3, first 2 shown]
	ds_write_b16 v20, v6
	ds_write_b16 v1, v7 offset:4352
	ds_read_b32 v6, v20 offset:272
	ds_read_b32 v7, v1 offset:4080
	global_load_dword v13, v[8:9], off offset:1088
	global_load_dword v14, v[8:9], off offset:1360
	;; [unrolled: 1-line block ×4, first 2 shown]
	s_mov_b32 s0, 0xffff
	s_waitcnt lgkmcnt(0)
	v_pk_add_f16 v8, v6, v7 neg_lo:[0,1] neg_hi:[0,1]
	v_pk_add_f16 v6, v6, v7
	v_bfi_b32 v7, s0, v8, v6
	v_bfi_b32 v6, s0, v6, v8
	v_pk_mul_f16 v7, v7, 0.5 op_sel_hi:[1,0]
	v_pk_mul_f16 v8, v6, 0.5 op_sel_hi:[1,0]
	s_waitcnt vmcnt(6)
	v_pk_mul_f16 v9, v10, v7 op_sel:[1,0]
	v_pk_mul_f16 v7, v10, v7 op_sel_hi:[0,1]
	v_pk_fma_f16 v6, v6, 0.5, v9 op_sel_hi:[1,0,1]
	v_sub_f16_e32 v10, v8, v9
	v_sub_f16_sdwa v8, v9, v8 dst_sel:DWORD dst_unused:UNUSED_PAD src0_sel:WORD_1 src1_sel:WORD_1
	v_pk_add_f16 v9, v6, v7 op_sel:[0,1] op_sel_hi:[1,0]
	v_pk_add_f16 v6, v6, v7 op_sel:[0,1] op_sel_hi:[1,0] neg_lo:[0,1] neg_hi:[0,1]
	v_sub_f16_sdwa v10, v10, v7 dst_sel:DWORD dst_unused:UNUSED_PAD src0_sel:DWORD src1_sel:WORD_1
	v_sub_f16_e32 v7, v8, v7
	v_bfi_b32 v6, s0, v9, v6
	ds_write_b16 v1, v7 offset:4082
	ds_write_b32 v20, v6 offset:272
	ds_write_b16 v1, v10 offset:4080
	ds_read_b32 v6, v20 offset:544
	ds_read_b32 v7, v1 offset:3808
	s_waitcnt lgkmcnt(0)
	v_pk_add_f16 v8, v6, v7 neg_lo:[0,1] neg_hi:[0,1]
	v_pk_add_f16 v6, v6, v7
	v_bfi_b32 v7, s0, v8, v6
	v_bfi_b32 v6, s0, v6, v8
	v_pk_mul_f16 v7, v7, 0.5 op_sel_hi:[1,0]
	v_pk_mul_f16 v8, v6, 0.5 op_sel_hi:[1,0]
	s_waitcnt vmcnt(5)
	v_pk_mul_f16 v9, v11, v7 op_sel:[1,0]
	v_pk_mul_f16 v7, v11, v7 op_sel_hi:[0,1]
	v_pk_fma_f16 v6, v6, 0.5, v9 op_sel_hi:[1,0,1]
	v_sub_f16_e32 v10, v8, v9
	v_sub_f16_sdwa v8, v9, v8 dst_sel:DWORD dst_unused:UNUSED_PAD src0_sel:WORD_1 src1_sel:WORD_1
	v_pk_add_f16 v9, v6, v7 op_sel:[0,1] op_sel_hi:[1,0]
	v_pk_add_f16 v6, v6, v7 op_sel:[0,1] op_sel_hi:[1,0] neg_lo:[0,1] neg_hi:[0,1]
	v_sub_f16_sdwa v10, v10, v7 dst_sel:DWORD dst_unused:UNUSED_PAD src0_sel:DWORD src1_sel:WORD_1
	v_sub_f16_e32 v7, v8, v7
	v_bfi_b32 v6, s0, v9, v6
	ds_write_b16 v1, v7 offset:3810
	ds_write_b32 v20, v6 offset:544
	ds_write_b16 v1, v10 offset:3808
	ds_read_b32 v6, v20 offset:816
	ds_read_b32 v7, v1 offset:3536
	;; [unrolled: 23-line block ×6, first 2 shown]
	s_waitcnt lgkmcnt(0)
	v_pk_add_f16 v8, v6, v7 neg_lo:[0,1] neg_hi:[0,1]
	v_pk_add_f16 v6, v6, v7
	v_bfi_b32 v7, s0, v8, v6
	v_bfi_b32 v6, s0, v6, v8
	v_pk_mul_f16 v7, v7, 0.5 op_sel_hi:[1,0]
	v_pk_mul_f16 v6, v6, 0.5 op_sel_hi:[1,0]
	s_waitcnt vmcnt(0)
	v_pk_fma_f16 v8, v16, v7, v6 op_sel:[1,0,0]
	v_pk_mul_f16 v9, v16, v7 op_sel_hi:[0,1]
	v_pk_fma_f16 v10, v16, v7, v6 op_sel:[1,0,0] neg_lo:[1,0,0] neg_hi:[1,0,0]
	v_pk_fma_f16 v6, v16, v7, v6 op_sel:[1,0,0] neg_lo:[0,0,1] neg_hi:[0,0,1]
	v_pk_add_f16 v7, v8, v9 op_sel:[0,1] op_sel_hi:[1,0]
	v_pk_add_f16 v8, v8, v9 op_sel:[0,1] op_sel_hi:[1,0] neg_lo:[0,1] neg_hi:[0,1]
	v_pk_add_f16 v10, v10, v9 op_sel:[0,1] op_sel_hi:[1,0] neg_lo:[0,1] neg_hi:[0,1]
	;; [unrolled: 1-line block ×3, first 2 shown]
	v_bfi_b32 v7, s0, v7, v8
	v_bfi_b32 v6, s0, v10, v6
	ds_write_b32 v20, v7 offset:1904
	ds_write_b32 v1, v6 offset:2448
	s_waitcnt lgkmcnt(0)
	s_barrier
	s_and_saveexec_b64 s[0:1], vcc
	s_cbranch_execz .LBB0_19
; %bb.17:
	ds_read2_b32 v[6:7], v20 offset1:68
	v_mov_b32_e32 v1, s3
	v_add_co_u32_e32 v2, vcc, s2, v2
	v_addc_co_u32_e32 v1, vcc, v1, v3, vcc
	ds_read2_b32 v[8:9], v20 offset0:136 offset1:204
	v_add_co_u32_e32 v3, vcc, v2, v4
	v_addc_co_u32_e32 v4, vcc, v1, v5, vcc
	s_waitcnt lgkmcnt(1)
	global_store_dword v[3:4], v6, off
	global_store_dword v[3:4], v7, off offset:272
	s_waitcnt lgkmcnt(0)
	global_store_dword v[3:4], v8, off offset:544
	v_add_u32_e32 v7, 0x400, v20
	ds_read2_b32 v[5:6], v7 offset0:16 offset1:84
	ds_read2_b32 v[7:8], v7 offset0:152 offset1:220
	v_add_u32_e32 v11, 0x800, v20
	global_store_dword v[3:4], v9, off offset:816
	ds_read2_b32 v[9:10], v11 offset0:32 offset1:100
	s_waitcnt lgkmcnt(2)
	global_store_dword v[3:4], v5, off offset:1088
	global_store_dword v[3:4], v6, off offset:1360
	s_waitcnt lgkmcnt(1)
	global_store_dword v[3:4], v7, off offset:1632
	global_store_dword v[3:4], v8, off offset:1904
	s_waitcnt lgkmcnt(0)
	global_store_dword v[3:4], v9, off offset:2176
	ds_read2_b32 v[5:6], v11 offset0:168 offset1:236
	v_add_u32_e32 v9, 0xc00, v20
	ds_read2_b32 v[7:8], v9 offset0:48 offset1:116
	s_movk_i32 s0, 0x43
	global_store_dword v[3:4], v10, off offset:2448
	ds_read2_b32 v[9:10], v9 offset0:184 offset1:252
	v_cmp_eq_u32_e32 vcc, s0, v0
	s_waitcnt lgkmcnt(2)
	global_store_dword v[3:4], v5, off offset:2720
	global_store_dword v[3:4], v6, off offset:2992
	s_waitcnt lgkmcnt(1)
	global_store_dword v[3:4], v7, off offset:3264
	global_store_dword v[3:4], v8, off offset:3536
	;; [unrolled: 3-line block ×3, first 2 shown]
	s_and_b64 exec, exec, vcc
	s_cbranch_execz .LBB0_19
; %bb.18:
	ds_read_b32 v3, v20 offset:4084
	v_add_co_u32_e32 v0, vcc, 0x1000, v2
	v_addc_co_u32_e32 v1, vcc, 0, v1, vcc
	s_waitcnt lgkmcnt(0)
	global_store_dword v[0:1], v3, off offset:256
.LBB0_19:
	s_endpgm
	.section	.rodata,"a",@progbits
	.p2align	6, 0x0
	.amdhsa_kernel fft_rtc_fwd_len1088_factors_17_4_4_2_2_wgs_204_tpt_68_halfLds_half_ip_CI_unitstride_sbrr_R2C_dirReg
		.amdhsa_group_segment_fixed_size 0
		.amdhsa_private_segment_fixed_size 0
		.amdhsa_kernarg_size 88
		.amdhsa_user_sgpr_count 6
		.amdhsa_user_sgpr_private_segment_buffer 1
		.amdhsa_user_sgpr_dispatch_ptr 0
		.amdhsa_user_sgpr_queue_ptr 0
		.amdhsa_user_sgpr_kernarg_segment_ptr 1
		.amdhsa_user_sgpr_dispatch_id 0
		.amdhsa_user_sgpr_flat_scratch_init 0
		.amdhsa_user_sgpr_private_segment_size 0
		.amdhsa_uses_dynamic_stack 0
		.amdhsa_system_sgpr_private_segment_wavefront_offset 0
		.amdhsa_system_sgpr_workgroup_id_x 1
		.amdhsa_system_sgpr_workgroup_id_y 0
		.amdhsa_system_sgpr_workgroup_id_z 0
		.amdhsa_system_sgpr_workgroup_info 0
		.amdhsa_system_vgpr_workitem_id 0
		.amdhsa_next_free_vgpr 148
		.amdhsa_next_free_sgpr 32
		.amdhsa_reserve_vcc 1
		.amdhsa_reserve_flat_scratch 0
		.amdhsa_float_round_mode_32 0
		.amdhsa_float_round_mode_16_64 0
		.amdhsa_float_denorm_mode_32 3
		.amdhsa_float_denorm_mode_16_64 3
		.amdhsa_dx10_clamp 1
		.amdhsa_ieee_mode 1
		.amdhsa_fp16_overflow 0
		.amdhsa_exception_fp_ieee_invalid_op 0
		.amdhsa_exception_fp_denorm_src 0
		.amdhsa_exception_fp_ieee_div_zero 0
		.amdhsa_exception_fp_ieee_overflow 0
		.amdhsa_exception_fp_ieee_underflow 0
		.amdhsa_exception_fp_ieee_inexact 0
		.amdhsa_exception_int_div_zero 0
	.end_amdhsa_kernel
	.text
.Lfunc_end0:
	.size	fft_rtc_fwd_len1088_factors_17_4_4_2_2_wgs_204_tpt_68_halfLds_half_ip_CI_unitstride_sbrr_R2C_dirReg, .Lfunc_end0-fft_rtc_fwd_len1088_factors_17_4_4_2_2_wgs_204_tpt_68_halfLds_half_ip_CI_unitstride_sbrr_R2C_dirReg
                                        ; -- End function
	.section	.AMDGPU.csdata,"",@progbits
; Kernel info:
; codeLenInByte = 12200
; NumSgprs: 36
; NumVgprs: 148
; ScratchSize: 0
; MemoryBound: 0
; FloatMode: 240
; IeeeMode: 1
; LDSByteSize: 0 bytes/workgroup (compile time only)
; SGPRBlocks: 4
; VGPRBlocks: 36
; NumSGPRsForWavesPerEU: 36
; NumVGPRsForWavesPerEU: 148
; Occupancy: 1
; WaveLimiterHint : 1
; COMPUTE_PGM_RSRC2:SCRATCH_EN: 0
; COMPUTE_PGM_RSRC2:USER_SGPR: 6
; COMPUTE_PGM_RSRC2:TRAP_HANDLER: 0
; COMPUTE_PGM_RSRC2:TGID_X_EN: 1
; COMPUTE_PGM_RSRC2:TGID_Y_EN: 0
; COMPUTE_PGM_RSRC2:TGID_Z_EN: 0
; COMPUTE_PGM_RSRC2:TIDIG_COMP_CNT: 0
	.type	__hip_cuid_c41d1c1b23517509,@object ; @__hip_cuid_c41d1c1b23517509
	.section	.bss,"aw",@nobits
	.globl	__hip_cuid_c41d1c1b23517509
__hip_cuid_c41d1c1b23517509:
	.byte	0                               ; 0x0
	.size	__hip_cuid_c41d1c1b23517509, 1

	.ident	"AMD clang version 19.0.0git (https://github.com/RadeonOpenCompute/llvm-project roc-6.4.0 25133 c7fe45cf4b819c5991fe208aaa96edf142730f1d)"
	.section	".note.GNU-stack","",@progbits
	.addrsig
	.addrsig_sym __hip_cuid_c41d1c1b23517509
	.amdgpu_metadata
---
amdhsa.kernels:
  - .args:
      - .actual_access:  read_only
        .address_space:  global
        .offset:         0
        .size:           8
        .value_kind:     global_buffer
      - .offset:         8
        .size:           8
        .value_kind:     by_value
      - .actual_access:  read_only
        .address_space:  global
        .offset:         16
        .size:           8
        .value_kind:     global_buffer
      - .actual_access:  read_only
        .address_space:  global
        .offset:         24
        .size:           8
        .value_kind:     global_buffer
      - .offset:         32
        .size:           8
        .value_kind:     by_value
      - .actual_access:  read_only
        .address_space:  global
        .offset:         40
        .size:           8
        .value_kind:     global_buffer
      - .actual_access:  read_only
        .address_space:  global
        .offset:         48
        .size:           8
        .value_kind:     global_buffer
      - .offset:         56
        .size:           4
        .value_kind:     by_value
      - .actual_access:  read_only
        .address_space:  global
        .offset:         64
        .size:           8
        .value_kind:     global_buffer
      - .actual_access:  read_only
        .address_space:  global
        .offset:         72
        .size:           8
        .value_kind:     global_buffer
      - .address_space:  global
        .offset:         80
        .size:           8
        .value_kind:     global_buffer
    .group_segment_fixed_size: 0
    .kernarg_segment_align: 8
    .kernarg_segment_size: 88
    .language:       OpenCL C
    .language_version:
      - 2
      - 0
    .max_flat_workgroup_size: 204
    .name:           fft_rtc_fwd_len1088_factors_17_4_4_2_2_wgs_204_tpt_68_halfLds_half_ip_CI_unitstride_sbrr_R2C_dirReg
    .private_segment_fixed_size: 0
    .sgpr_count:     36
    .sgpr_spill_count: 0
    .symbol:         fft_rtc_fwd_len1088_factors_17_4_4_2_2_wgs_204_tpt_68_halfLds_half_ip_CI_unitstride_sbrr_R2C_dirReg.kd
    .uniform_work_group_size: 1
    .uses_dynamic_stack: false
    .vgpr_count:     148
    .vgpr_spill_count: 0
    .wavefront_size: 64
amdhsa.target:   amdgcn-amd-amdhsa--gfx906
amdhsa.version:
  - 1
  - 2
...

	.end_amdgpu_metadata
